;; amdgpu-corpus repo=ROCm/rocFFT kind=compiled arch=gfx1030 opt=O3
	.text
	.amdgcn_target "amdgcn-amd-amdhsa--gfx1030"
	.amdhsa_code_object_version 6
	.protected	bluestein_single_fwd_len1430_dim1_sp_op_CI_CI ; -- Begin function bluestein_single_fwd_len1430_dim1_sp_op_CI_CI
	.globl	bluestein_single_fwd_len1430_dim1_sp_op_CI_CI
	.p2align	8
	.type	bluestein_single_fwd_len1430_dim1_sp_op_CI_CI,@function
bluestein_single_fwd_len1430_dim1_sp_op_CI_CI: ; @bluestein_single_fwd_len1430_dim1_sp_op_CI_CI
; %bb.0:
	s_load_dwordx4 s[0:3], s[4:5], 0x28
	v_mul_u32_u24_e32 v1, 0x1cb, v0
	v_mov_b32_e32 v65, 0
	v_lshrrev_b32_e32 v1, 16, v1
	v_add_nc_u32_e32 v64, s6, v1
	s_waitcnt lgkmcnt(0)
	v_cmp_gt_u64_e32 vcc_lo, s[0:1], v[64:65]
	s_and_saveexec_b32 s0, vcc_lo
	s_cbranch_execz .LBB0_23
; %bb.1:
	s_clause 0x1
	s_load_dwordx2 s[12:13], s[4:5], 0x0
	s_load_dwordx2 s[6:7], s[4:5], 0x38
	v_mul_lo_u16 v1, 0x8f, v1
	v_sub_nc_u16 v0, v0, v1
	v_and_b32_e32 v70, 0xffff, v0
	v_cmp_gt_u16_e32 vcc_lo, 0x6e, v0
	v_lshlrev_b32_e32 v69, 3, v70
	s_and_saveexec_b32 s1, vcc_lo
	s_cbranch_execz .LBB0_3
; %bb.2:
	s_load_dwordx2 s[8:9], s[4:5], 0x18
	s_waitcnt lgkmcnt(0)
	v_add_co_u32 v21, s0, s12, v69
	v_add_co_ci_u32_e64 v22, null, s13, 0, s0
	v_add_nc_u32_e32 v54, 0x400, v69
	v_add_co_u32 v8, s0, 0x800, v21
	v_add_co_ci_u32_e64 v9, s0, 0, v22, s0
	v_add_co_u32 v10, s0, 0x1000, v21
	v_add_co_ci_u32_e64 v11, s0, 0, v22, s0
	;; [unrolled: 2-line block ×3, first 2 shown]
	v_add_nc_u32_e32 v55, 0xc00, v69
	v_add_nc_u32_e32 v56, 0x1400, v69
	s_load_dwordx4 s[8:11], s[8:9], 0x0
	s_clause 0x2
	global_load_dwordx2 v[0:1], v69, s[12:13]
	global_load_dwordx2 v[2:3], v69, s[12:13] offset:880
	global_load_dwordx2 v[4:5], v69, s[12:13] offset:1760
	v_add_nc_u32_e32 v57, 0x1800, v69
	v_add_nc_u32_e32 v58, 0x2000, v69
	s_waitcnt lgkmcnt(0)
	v_mad_u64_u32 v[6:7], null, s10, v64, 0
	v_mad_u64_u32 v[12:13], null, s8, v70, 0
	s_mul_hi_u32 s10, s8, 0x370
	v_mad_u64_u32 v[16:17], null, s11, v64, v[7:8]
	v_mov_b32_e32 v7, v13
	v_add_co_u32 v17, s0, 0x2000, v21
	v_add_co_ci_u32_e64 v18, s0, 0, v22, s0
	v_mad_u64_u32 v[19:20], null, s9, v70, v[7:8]
	v_mov_b32_e32 v7, v16
	v_add_co_u32 v20, s0, 0x2800, v21
	v_add_co_ci_u32_e64 v21, s0, 0, v22, s0
	v_lshlrev_b64 v[6:7], 3, v[6:7]
	v_mov_b32_e32 v13, v19
	s_mulk_i32 s9, 0x370
	s_clause 0x1
	global_load_dwordx2 v[22:23], v[8:9], off offset:592
	global_load_dwordx2 v[8:9], v[8:9], off offset:1472
	s_add_i32 s10, s10, s9
	s_clause 0x1
	global_load_dwordx2 v[24:25], v[10:11], off offset:304
	global_load_dwordx2 v[10:11], v[10:11], off offset:1184
	v_lshlrev_b64 v[12:13], 3, v[12:13]
	v_add_co_u32 v6, s0, s2, v6
	v_add_co_ci_u32_e64 v7, s0, s3, v7, s0
	s_mul_i32 s2, s8, 0x370
	v_add_co_u32 v6, s0, v6, v12
	v_add_co_ci_u32_e64 v7, s0, v7, v13, s0
	s_clause 0x2
	global_load_dwordx2 v[26:27], v[14:15], off offset:16
	global_load_dwordx2 v[28:29], v[14:15], off offset:896
	;; [unrolled: 1-line block ×3, first 2 shown]
	v_add_co_u32 v12, s0, v6, s2
	v_add_co_ci_u32_e64 v13, s0, s10, v7, s0
	global_load_dwordx2 v[6:7], v[6:7], off
	v_add_co_u32 v30, s0, v12, s2
	v_add_co_ci_u32_e64 v31, s0, s10, v13, s0
	global_load_dwordx2 v[32:33], v[17:18], off offset:608
	v_add_co_u32 v34, s0, v30, s2
	v_add_co_ci_u32_e64 v35, s0, s10, v31, s0
	v_add_co_u32 v36, s0, v34, s2
	v_add_co_ci_u32_e64 v37, s0, s10, v35, s0
	s_clause 0x2
	global_load_dwordx2 v[12:13], v[12:13], off
	global_load_dwordx2 v[30:31], v[30:31], off
	;; [unrolled: 1-line block ×3, first 2 shown]
	v_add_co_u32 v38, s0, v36, s2
	v_add_co_ci_u32_e64 v39, s0, s10, v37, s0
	global_load_dwordx2 v[36:37], v[36:37], off
	v_add_co_u32 v40, s0, v38, s2
	v_add_co_ci_u32_e64 v41, s0, s10, v39, s0
	global_load_dwordx2 v[38:39], v[38:39], off
	;; [unrolled: 3-line block ×7, first 2 shown]
	v_add_co_u32 v52, s0, v50, s2
	v_add_co_ci_u32_e64 v53, s0, s10, v51, s0
	global_load_dwordx2 v[16:17], v[17:18], off offset:1488
	global_load_dwordx2 v[18:19], v[50:51], off
	global_load_dwordx2 v[20:21], v[20:21], off offset:320
	global_load_dwordx2 v[50:51], v[52:53], off
	s_waitcnt vmcnt(15)
	v_mul_f32_e32 v52, v7, v1
	v_mul_f32_e32 v53, v6, v1
	v_fmac_f32_e32 v52, v6, v0
	v_fma_f32 v53, v7, v0, -v53
	s_waitcnt vmcnt(13)
	v_mul_f32_e32 v1, v13, v3
	v_mul_f32_e32 v0, v12, v3
	s_waitcnt vmcnt(12)
	v_mul_f32_e32 v6, v30, v5
	v_mul_f32_e32 v5, v31, v5
	;; [unrolled: 3-line block ×3, first 2 shown]
	v_fmac_f32_e32 v1, v12, v2
	v_fma_f32 v2, v13, v2, -v0
	v_fma_f32 v6, v31, v4, -v6
	v_fmac_f32_e32 v5, v30, v4
	v_fmac_f32_e32 v3, v34, v22
	v_fma_f32 v4, v35, v22, -v7
	ds_write2_b64 v69, v[52:53], v[1:2] offset1:110
	s_waitcnt vmcnt(10)
	v_mul_f32_e32 v7, v36, v9
	v_mul_f32_e32 v0, v37, v9
	s_waitcnt vmcnt(9)
	v_mul_f32_e32 v2, v39, v25
	ds_write2_b64 v54, v[5:6], v[3:4] offset0:92 offset1:202
	s_waitcnt vmcnt(8)
	v_mul_f32_e32 v4, v41, v11
	v_mul_f32_e32 v5, v40, v11
	;; [unrolled: 1-line block ×3, first 2 shown]
	v_fma_f32 v1, v37, v8, -v7
	v_fmac_f32_e32 v0, v36, v8
	v_fmac_f32_e32 v4, v40, v10
	v_fma_f32 v5, v41, v10, -v5
	s_waitcnt vmcnt(7)
	v_mul_f32_e32 v6, v43, v27
	v_mul_f32_e32 v7, v42, v27
	v_fmac_f32_e32 v2, v38, v24
	s_waitcnt vmcnt(6)
	v_mul_f32_e32 v8, v45, v29
	v_mul_f32_e32 v9, v44, v29
	v_fma_f32 v3, v39, v24, -v3
	v_fmac_f32_e32 v6, v42, v26
	v_fma_f32 v7, v43, v26, -v7
	s_waitcnt vmcnt(5)
	v_mul_f32_e32 v10, v47, v15
	v_mul_f32_e32 v11, v46, v15
	v_fmac_f32_e32 v8, v44, v28
	v_fma_f32 v9, v45, v28, -v9
	s_waitcnt vmcnt(4)
	v_mul_f32_e32 v12, v49, v33
	v_fmac_f32_e32 v10, v46, v14
	v_fma_f32 v11, v47, v14, -v11
	v_mul_f32_e32 v13, v48, v33
	s_waitcnt vmcnt(2)
	v_mul_f32_e32 v14, v19, v17
	v_mul_f32_e32 v15, v18, v17
	s_waitcnt vmcnt(0)
	v_mul_f32_e32 v17, v51, v21
	v_mul_f32_e32 v21, v50, v21
	v_fmac_f32_e32 v12, v48, v32
	v_fma_f32 v13, v49, v32, -v13
	v_fmac_f32_e32 v14, v18, v16
	v_fma_f32 v15, v19, v16, -v15
	;; [unrolled: 2-line block ×3, first 2 shown]
	ds_write2_b64 v55, v[0:1], v[2:3] offset0:56 offset1:166
	ds_write2_b64 v56, v[4:5], v[6:7] offset0:20 offset1:130
	;; [unrolled: 1-line block ×4, first 2 shown]
	ds_write_b64 v69, v[17:18] offset:10560
.LBB0_3:
	s_or_b32 exec_lo, exec_lo, s1
	v_mov_b32_e32 v22, 0
	v_mov_b32_e32 v23, 0
	s_waitcnt lgkmcnt(0)
	s_barrier
	buffer_gl0_inv
                                        ; implicit-def: $vgpr2
                                        ; implicit-def: $vgpr4
                                        ; implicit-def: $vgpr12
                                        ; implicit-def: $vgpr20
                                        ; implicit-def: $vgpr10
                                        ; implicit-def: $vgpr18
	s_and_saveexec_b32 s0, vcc_lo
	s_cbranch_execz .LBB0_5
; %bb.4:
	v_add_nc_u32_e32 v0, 0x400, v69
	v_add_nc_u32_e32 v1, 0xc00, v69
	;; [unrolled: 1-line block ×5, first 2 shown]
	ds_read2_b64 v[22:25], v69 offset1:110
	ds_read2_b64 v[16:19], v0 offset0:92 offset1:202
	ds_read2_b64 v[8:11], v1 offset0:56 offset1:166
	;; [unrolled: 1-line block ×5, first 2 shown]
	ds_read_b64 v[20:21], v69 offset:10560
.LBB0_5:
	s_or_b32 exec_lo, exec_lo, s0
	s_waitcnt lgkmcnt(6)
	v_add_f32_e32 v26, v24, v22
	v_add_f32_e32 v27, v25, v23
	s_waitcnt lgkmcnt(0)
	v_add_f32_e32 v28, v20, v24
	v_sub_f32_e32 v24, v24, v20
	v_sub_f32_e32 v29, v25, v21
	v_add_f32_e32 v26, v16, v26
	v_add_f32_e32 v27, v17, v27
	;; [unrolled: 1-line block ×3, first 2 shown]
	v_mul_f32_e32 v35, 0xbf7e222b, v24
	v_mul_f32_e32 v30, 0xbeedf032, v29
	v_add_f32_e32 v26, v18, v26
	v_add_f32_e32 v27, v19, v27
	v_mul_f32_e32 v31, 0xbeedf032, v24
	v_mul_f32_e32 v32, 0xbf52af12, v29
	;; [unrolled: 1-line block ×3, first 2 shown]
	v_add_f32_e32 v26, v8, v26
	v_add_f32_e32 v27, v9, v27
	v_mul_f32_e32 v34, 0xbf7e222b, v29
	v_mul_f32_e32 v36, 0xbf6f5d39, v29
	v_fmamk_f32 v42, v25, 0x3df6dbef, v35
	v_add_f32_e32 v26, v10, v26
	v_add_f32_e32 v27, v11, v27
	v_mul_f32_e32 v44, 0xbf29c268, v29
	v_mul_f32_e32 v45, 0xbf29c268, v24
	v_mul_f32_e32 v29, 0xbe750f2a, v29
	v_add_f32_e32 v26, v0, v26
	v_add_f32_e32 v27, v1, v27
	v_sub_f32_e32 v49, v17, v15
	v_add_f32_e32 v51, v14, v16
	v_fma_f32 v37, 0x3f62ad3f, v28, -v30
	v_add_f32_e32 v26, v2, v26
	v_add_f32_e32 v27, v3, v27
	v_fmamk_f32 v38, v25, 0x3f62ad3f, v31
	v_fmac_f32_e32 v30, 0x3f62ad3f, v28
	v_fma_f32 v31, 0x3f62ad3f, v25, -v31
	v_add_f32_e32 v26, v4, v26
	v_add_f32_e32 v27, v5, v27
	v_fma_f32 v39, 0x3f116cb1, v28, -v32
	v_fmamk_f32 v40, v25, 0x3f116cb1, v33
	v_fmac_f32_e32 v32, 0x3f116cb1, v28
	v_add_f32_e32 v26, v6, v26
	v_add_f32_e32 v27, v7, v27
	v_fma_f32 v33, 0x3f116cb1, v25, -v33
	v_fma_f32 v41, 0x3df6dbef, v28, -v34
	v_fmac_f32_e32 v34, 0x3df6dbef, v28
	v_add_f32_e32 v26, v12, v26
	v_add_f32_e32 v27, v13, v27
	v_fma_f32 v46, 0xbf3f9e67, v28, -v44
	v_fmamk_f32 v47, v25, 0xbf3f9e67, v45
	v_fmac_f32_e32 v44, 0xbf3f9e67, v28
	v_add_f32_e32 v26, v14, v26
	v_add_f32_e32 v27, v15, v27
	v_sub_f32_e32 v14, v16, v14
	v_fma_f32 v45, 0xbf3f9e67, v25, -v45
	v_fma_f32 v48, 0xbf788fa5, v28, -v29
	v_add_f32_e32 v20, v20, v26
	v_fma_f32 v26, 0x3df6dbef, v25, -v35
	v_mul_f32_e32 v35, 0xbf6f5d39, v24
	v_mul_f32_e32 v24, 0xbe750f2a, v24
	v_add_f32_e32 v21, v21, v27
	v_fma_f32 v27, 0xbeb58ec6, v28, -v36
	v_fmac_f32_e32 v36, 0xbeb58ec6, v28
	v_fmamk_f32 v43, v25, 0xbeb58ec6, v35
	v_fma_f32 v35, 0xbeb58ec6, v25, -v35
	v_fmamk_f32 v50, v25, 0xbf788fa5, v24
	v_mul_f32_e32 v52, 0xbf52af12, v49
	v_fmac_f32_e32 v29, 0xbf788fa5, v28
	v_fma_f32 v16, 0xbf788fa5, v25, -v24
	v_add_f32_e32 v15, v15, v17
	v_mul_f32_e32 v24, 0xbf52af12, v14
	v_add_f32_e32 v37, v37, v22
	v_add_f32_e32 v38, v38, v23
	;; [unrolled: 1-line block ×21, first 2 shown]
	v_fma_f32 v17, 0x3f116cb1, v51, -v52
	v_add_f32_e32 v25, v50, v23
	v_add_f32_e32 v22, v29, v22
	;; [unrolled: 1-line block ×3, first 2 shown]
	v_fmamk_f32 v23, v15, 0x3f116cb1, v24
	v_mul_f32_e32 v28, 0xbf6f5d39, v49
	v_fma_f32 v24, 0x3f116cb1, v15, -v24
	v_mul_f32_e32 v29, 0xbf6f5d39, v14
	v_add_f32_e32 v17, v17, v37
	v_add_f32_e32 v23, v23, v38
	v_fma_f32 v37, 0xbeb58ec6, v51, -v28
	v_add_f32_e32 v24, v24, v31
	v_fmamk_f32 v31, v15, 0xbeb58ec6, v29
	v_mul_f32_e32 v38, 0xbe750f2a, v49
	v_fmac_f32_e32 v28, 0xbeb58ec6, v51
	v_add_f32_e32 v37, v37, v39
	v_fma_f32 v29, 0xbeb58ec6, v15, -v29
	v_add_f32_e32 v31, v31, v40
	v_fma_f32 v39, 0xbf788fa5, v51, -v38
	v_mul_f32_e32 v40, 0xbe750f2a, v14
	v_add_f32_e32 v28, v28, v32
	v_add_f32_e32 v29, v29, v33
	v_mul_f32_e32 v32, 0x3f29c268, v49
	v_add_f32_e32 v33, v39, v41
	v_fmamk_f32 v39, v15, 0xbf788fa5, v40
	v_fmac_f32_e32 v38, 0xbf788fa5, v51
	v_fma_f32 v40, 0xbf788fa5, v15, -v40
	v_mul_f32_e32 v50, 0x3f29c268, v14
	v_fma_f32 v41, 0xbf3f9e67, v51, -v32
	v_add_f32_e32 v39, v39, v42
	v_add_f32_e32 v34, v38, v34
	;; [unrolled: 1-line block ×3, first 2 shown]
	v_fmamk_f32 v38, v15, 0xbf3f9e67, v50
	v_mul_f32_e32 v40, 0x3f7e222b, v49
	v_fma_f32 v42, 0xbf3f9e67, v15, -v50
	v_add_f32_e32 v27, v41, v27
	v_fmac_f32_e32 v32, 0xbf3f9e67, v51
	v_mul_f32_e32 v41, 0x3f7e222b, v14
	v_add_f32_e32 v38, v38, v43
	v_fma_f32 v43, 0x3df6dbef, v51, -v40
	v_add_f32_e32 v35, v42, v35
	v_mul_f32_e32 v42, 0x3eedf032, v49
	v_fmac_f32_e32 v40, 0x3df6dbef, v51
	v_add_f32_e32 v32, v32, v36
	v_fmamk_f32 v36, v15, 0x3df6dbef, v41
	v_add_f32_e32 v43, v43, v46
	v_fma_f32 v41, 0x3df6dbef, v15, -v41
	v_fma_f32 v46, 0x3f62ad3f, v51, -v42
	v_add_f32_e32 v40, v40, v44
	v_sub_f32_e32 v44, v19, v13
	v_add_f32_e32 v36, v36, v47
	v_mul_f32_e32 v14, 0x3eedf032, v14
	v_add_f32_e32 v41, v41, v45
	v_add_f32_e32 v45, v46, v48
	;; [unrolled: 1-line block ×3, first 2 shown]
	v_mul_f32_e32 v48, 0xbf7e222b, v44
	v_sub_f32_e32 v12, v18, v12
	v_fmamk_f32 v46, v15, 0x3f62ad3f, v14
	v_fma_f32 v14, 0x3f62ad3f, v15, -v14
	v_add_f32_e32 v13, v13, v19
	v_fma_f32 v15, 0x3df6dbef, v47, -v48
	v_mul_f32_e32 v18, 0xbf7e222b, v12
	v_fmac_f32_e32 v42, 0x3f62ad3f, v51
	v_add_f32_e32 v19, v46, v25
	v_add_f32_e32 v14, v14, v16
	;; [unrolled: 1-line block ×3, first 2 shown]
	v_fmamk_f32 v16, v13, 0x3df6dbef, v18
	v_mul_f32_e32 v17, 0xbe750f2a, v44
	v_fma_f32 v18, 0x3df6dbef, v13, -v18
	v_mul_f32_e32 v25, 0xbe750f2a, v12
	v_add_f32_e32 v22, v42, v22
	v_add_f32_e32 v16, v16, v23
	v_fma_f32 v23, 0xbf788fa5, v47, -v17
	v_add_f32_e32 v18, v18, v24
	v_fmamk_f32 v24, v13, 0xbf788fa5, v25
	v_mul_f32_e32 v42, 0x3f6f5d39, v44
	v_fmac_f32_e32 v17, 0xbf788fa5, v47
	v_add_f32_e32 v23, v23, v37
	v_fma_f32 v25, 0xbf788fa5, v13, -v25
	v_add_f32_e32 v24, v24, v31
	v_fma_f32 v31, 0xbeb58ec6, v47, -v42
	v_mul_f32_e32 v37, 0x3f6f5d39, v12
	v_add_f32_e32 v17, v17, v28
	v_mul_f32_e32 v28, 0x3eedf032, v44
	v_add_f32_e32 v25, v25, v29
	v_add_f32_e32 v29, v31, v33
	v_fmamk_f32 v31, v13, 0xbeb58ec6, v37
	v_fma_f32 v33, 0xbeb58ec6, v13, -v37
	v_fma_f32 v37, 0x3f62ad3f, v47, -v28
	v_mul_f32_e32 v46, 0x3eedf032, v12
	v_fmac_f32_e32 v42, 0xbeb58ec6, v47
	v_add_f32_e32 v31, v31, v39
	v_add_f32_e32 v26, v33, v26
	;; [unrolled: 1-line block ×3, first 2 shown]
	v_fmamk_f32 v33, v13, 0x3f62ad3f, v46
	v_mul_f32_e32 v37, 0xbf52af12, v44
	v_fmac_f32_e32 v28, 0x3f62ad3f, v47
	v_mul_f32_e32 v39, 0xbf52af12, v12
	v_add_f32_e32 v34, v42, v34
	v_add_f32_e32 v33, v33, v38
	v_fma_f32 v38, 0x3f116cb1, v47, -v37
	v_fmac_f32_e32 v37, 0x3f116cb1, v47
	v_fma_f32 v42, 0x3f62ad3f, v13, -v46
	v_add_f32_e32 v28, v28, v32
	v_fmamk_f32 v32, v13, 0x3f116cb1, v39
	v_add_f32_e32 v38, v38, v43
	v_add_f32_e32 v37, v37, v40
	v_sub_f32_e32 v40, v9, v7
	v_add_f32_e32 v35, v42, v35
	v_mul_f32_e32 v42, 0xbf29c268, v44
	v_add_f32_e32 v32, v32, v36
	v_fma_f32 v36, 0x3f116cb1, v13, -v39
	v_mul_f32_e32 v12, 0xbf29c268, v12
	v_add_f32_e32 v43, v6, v8
	v_mul_f32_e32 v44, 0xbf6f5d39, v40
	v_sub_f32_e32 v6, v8, v6
	v_fma_f32 v39, 0xbf3f9e67, v47, -v42
	v_add_f32_e32 v36, v36, v41
	v_fmamk_f32 v41, v13, 0xbf3f9e67, v12
	v_fmac_f32_e32 v42, 0xbf3f9e67, v47
	v_fma_f32 v8, 0xbf3f9e67, v13, -v12
	v_add_f32_e32 v7, v7, v9
	v_fma_f32 v9, 0xbeb58ec6, v43, -v44
	v_mul_f32_e32 v12, 0xbf6f5d39, v6
	v_add_f32_e32 v13, v41, v19
	v_add_f32_e32 v19, v42, v22
	;; [unrolled: 1-line block ×4, first 2 shown]
	v_fmamk_f32 v14, v7, 0xbeb58ec6, v12
	v_mul_f32_e32 v15, 0x3f29c268, v40
	v_fma_f32 v12, 0xbeb58ec6, v7, -v12
	v_mul_f32_e32 v22, 0x3f29c268, v6
	v_mul_f32_e32 v41, 0x3eedf032, v40
	v_add_f32_e32 v14, v14, v16
	v_fma_f32 v16, 0xbf3f9e67, v43, -v15
	v_add_f32_e32 v12, v12, v18
	v_fmamk_f32 v18, v7, 0xbf3f9e67, v22
	v_fmac_f32_e32 v15, 0xbf3f9e67, v43
	v_fma_f32 v22, 0xbf3f9e67, v7, -v22
	v_add_f32_e32 v16, v16, v23
	v_fma_f32 v23, 0x3f62ad3f, v43, -v41
	v_add_f32_e32 v18, v18, v24
	v_mul_f32_e32 v24, 0x3eedf032, v6
	v_add_f32_e32 v15, v15, v17
	v_add_f32_e32 v17, v22, v25
	v_mul_f32_e32 v22, 0xbf7e222b, v40
	v_add_f32_e32 v23, v23, v29
	v_fmamk_f32 v25, v7, 0x3f62ad3f, v24
	v_fmac_f32_e32 v41, 0x3f62ad3f, v43
	v_fma_f32 v24, 0x3f62ad3f, v7, -v24
	v_fma_f32 v29, 0x3df6dbef, v43, -v22
	v_mul_f32_e32 v42, 0xbf7e222b, v6
	v_add_f32_e32 v25, v25, v31
	v_add_f32_e32 v31, v41, v34
	;; [unrolled: 1-line block ×4, first 2 shown]
	v_fmamk_f32 v27, v7, 0x3df6dbef, v42
	v_mul_f32_e32 v29, 0x3e750f2a, v40
	v_fmac_f32_e32 v22, 0x3df6dbef, v43
	v_mul_f32_e32 v34, 0x3e750f2a, v6
	v_mul_f32_e32 v40, 0x3f52af12, v40
	v_add_f32_e32 v27, v27, v33
	v_fma_f32 v33, 0xbf788fa5, v43, -v29
	v_add_f32_e32 v22, v22, v28
	v_fmamk_f32 v28, v7, 0xbf788fa5, v34
	v_fmac_f32_e32 v29, 0xbf788fa5, v43
	v_add_f32_e32 v39, v39, v45
	v_add_f32_e32 v33, v33, v38
	v_mul_f32_e32 v6, 0x3f52af12, v6
	v_add_f32_e32 v28, v28, v32
	v_fma_f32 v32, 0xbf788fa5, v7, -v34
	v_fma_f32 v34, 0x3f116cb1, v43, -v40
	v_add_f32_e32 v29, v29, v37
	v_sub_f32_e32 v37, v11, v5
	v_add_f32_e32 v38, v4, v10
	v_sub_f32_e32 v4, v10, v4
	v_add_f32_e32 v34, v34, v39
	v_fma_f32 v41, 0x3df6dbef, v7, -v42
	v_mul_f32_e32 v39, 0xbf29c268, v37
	v_add_f32_e32 v32, v32, v36
	v_fmamk_f32 v36, v7, 0x3f116cb1, v6
	v_fma_f32 v6, 0x3f116cb1, v7, -v6
	v_add_f32_e32 v5, v5, v11
	v_fma_f32 v7, 0xbf3f9e67, v38, -v39
	v_mul_f32_e32 v10, 0xbf29c268, v4
	v_fmac_f32_e32 v52, 0x3f116cb1, v51
	v_fmac_f32_e32 v40, 0x3f116cb1, v43
	v_add_f32_e32 v6, v6, v8
	v_add_f32_e32 v7, v7, v9
	v_fmamk_f32 v8, v5, 0xbf3f9e67, v10
	v_mul_f32_e32 v9, 0x3f7e222b, v37
	v_add_f32_e32 v30, v52, v30
	v_fmac_f32_e32 v48, 0x3df6dbef, v47
	v_add_f32_e32 v11, v36, v13
	v_add_f32_e32 v13, v40, v19
	v_fma_f32 v10, 0xbf3f9e67, v5, -v10
	v_mul_f32_e32 v19, 0x3f7e222b, v4
	v_add_f32_e32 v8, v8, v14
	v_fma_f32 v14, 0x3df6dbef, v38, -v9
	v_add_f32_e32 v30, v48, v30
	v_fmac_f32_e32 v44, 0xbeb58ec6, v43
	v_add_f32_e32 v10, v10, v12
	v_fmamk_f32 v12, v5, 0x3df6dbef, v19
	v_mul_f32_e32 v36, 0xbf52af12, v37
	v_add_f32_e32 v14, v14, v16
	v_fmac_f32_e32 v9, 0x3df6dbef, v38
	v_fma_f32 v16, 0x3df6dbef, v5, -v19
	v_add_f32_e32 v30, v44, v30
	v_fmac_f32_e32 v39, 0xbf3f9e67, v38
	v_add_f32_e32 v12, v12, v18
	v_fma_f32 v18, 0x3f116cb1, v38, -v36
	v_mul_f32_e32 v19, 0xbf52af12, v4
	v_add_f32_e32 v9, v9, v15
	v_add_f32_e32 v15, v16, v17
	v_mul_f32_e32 v16, 0x3e750f2a, v37
	v_add_f32_e32 v30, v39, v30
	v_add_f32_e32 v17, v18, v23
	v_fmamk_f32 v18, v5, 0x3f116cb1, v19
	v_fma_f32 v19, 0x3f116cb1, v5, -v19
	v_fma_f32 v23, 0xbf788fa5, v38, -v16
	v_mul_f32_e32 v39, 0x3e750f2a, v4
	v_fmac_f32_e32 v16, 0xbf788fa5, v38
	v_add_f32_e32 v18, v18, v25
	v_add_f32_e32 v19, v19, v24
	;; [unrolled: 1-line block ×3, first 2 shown]
	v_fmamk_f32 v23, v5, 0xbf788fa5, v39
	v_mul_f32_e32 v24, 0x3eedf032, v37
	v_mul_f32_e32 v25, 0x3eedf032, v4
	v_add_f32_e32 v35, v41, v35
	v_add_f32_e32 v16, v16, v22
	;; [unrolled: 1-line block ×3, first 2 shown]
	v_fma_f32 v23, 0x3f62ad3f, v38, -v24
	v_fmamk_f32 v22, v5, 0x3f62ad3f, v25
	v_fmac_f32_e32 v24, 0x3f62ad3f, v38
	v_sub_f32_e32 v43, v1, v3
	v_fma_f32 v26, 0xbf788fa5, v5, -v39
	v_mul_f32_e32 v4, 0xbf6f5d39, v4
	v_add_f32_e32 v28, v22, v28
	v_fma_f32 v22, 0x3f62ad3f, v5, -v25
	v_add_f32_e32 v29, v24, v29
	v_add_f32_e32 v46, v2, v0
	v_mul_f32_e32 v24, 0xbe750f2a, v43
	v_sub_f32_e32 v0, v0, v2
	v_add_f32_e32 v35, v26, v35
	v_mul_f32_e32 v26, 0xbf6f5d39, v37
	v_add_f32_e32 v44, v22, v32
	v_fmamk_f32 v22, v5, 0xbeb58ec6, v4
	v_fma_f32 v2, 0xbeb58ec6, v5, -v4
	v_add_f32_e32 v1, v3, v1
	v_fma_f32 v3, 0xbf788fa5, v46, -v24
	v_mul_f32_e32 v4, 0xbe750f2a, v0
	v_add_f32_e32 v42, v23, v33
	v_fma_f32 v23, 0xbeb58ec6, v38, -v26
	v_add_f32_e32 v5, v22, v11
	v_add_f32_e32 v2, v2, v6
	;; [unrolled: 1-line block ×3, first 2 shown]
	v_fmamk_f32 v3, v1, 0xbf788fa5, v4
	v_mul_f32_e32 v6, 0x3eedf032, v43
	v_fma_f32 v4, 0xbf788fa5, v1, -v4
	v_mul_f32_e32 v7, 0x3eedf032, v0
	v_add_f32_e32 v45, v23, v34
	v_fmac_f32_e32 v24, 0xbf788fa5, v46
	v_add_f32_e32 v23, v3, v8
	v_fma_f32 v3, 0x3f62ad3f, v46, -v6
	v_add_f32_e32 v68, v4, v10
	v_fmamk_f32 v4, v1, 0x3f62ad3f, v7
	v_mul_f32_e32 v8, 0xbf29c268, v43
	v_fmac_f32_e32 v26, 0xbeb58ec6, v38
	v_add_f32_e32 v67, v24, v30
	v_add_f32_e32 v24, v3, v14
	v_fmac_f32_e32 v6, 0x3f62ad3f, v46
	v_fma_f32 v3, 0x3f62ad3f, v1, -v7
	v_add_f32_e32 v25, v4, v12
	v_fma_f32 v4, 0xbf3f9e67, v46, -v8
	v_mul_f32_e32 v7, 0xbf29c268, v0
	v_fmac_f32_e32 v36, 0x3f116cb1, v38
	v_add_f32_e32 v11, v26, v13
	v_add_f32_e32 v38, v6, v9
	;; [unrolled: 1-line block ×3, first 2 shown]
	v_fmamk_f32 v4, v1, 0xbf3f9e67, v7
	v_fma_f32 v6, 0xbf3f9e67, v1, -v7
	v_mul_f32_e32 v9, 0x3f52af12, v0
	v_add_f32_e32 v31, v36, v31
	v_add_f32_e32 v39, v3, v15
	v_mul_f32_e32 v3, 0x3f52af12, v43
	v_fmac_f32_e32 v8, 0xbf3f9e67, v46
	v_add_f32_e32 v27, v4, v18
	v_add_f32_e32 v37, v6, v19
	v_fmamk_f32 v4, v1, 0x3f116cb1, v9
	v_mul_f32_e32 v6, 0xbf6f5d39, v43
	s_load_dwordx2 s[2:3], s[4:5], 0x8
	v_fma_f32 v7, 0x3f116cb1, v46, -v3
	v_add_f32_e32 v36, v8, v31
	v_fmac_f32_e32 v3, 0x3f116cb1, v46
	v_mul_f32_e32 v8, 0xbf6f5d39, v0
	v_add_f32_e32 v33, v4, v41
	v_fma_f32 v4, 0xbeb58ec6, v46, -v6
	v_add_f32_e32 v32, v7, v40
	v_fma_f32 v7, 0x3f116cb1, v1, -v9
	v_add_f32_e32 v30, v3, v16
	v_fmamk_f32 v3, v1, 0xbeb58ec6, v8
	v_fmac_f32_e32 v6, 0xbeb58ec6, v46
	v_add_f32_e32 v34, v4, v42
	v_mul_f32_e32 v4, 0x3f7e222b, v43
	v_mul_f32_e32 v0, 0x3f7e222b, v0
	v_add_f32_e32 v31, v7, v35
	v_add_f32_e32 v35, v3, v28
	v_add_f32_e32 v28, v6, v29
	v_fma_f32 v3, 0xbeb58ec6, v1, -v8
	v_fma_f32 v6, 0x3df6dbef, v46, -v4
	v_fmamk_f32 v7, v1, 0x3df6dbef, v0
	v_fmac_f32_e32 v4, 0x3df6dbef, v46
	v_fma_f32 v0, 0x3df6dbef, v1, -v0
	v_add_f32_e32 v29, v3, v44
	v_add_f32_e32 v40, v6, v45
	;; [unrolled: 1-line block ×5, first 2 shown]
	v_mul_lo_u16 v73, v70, 13
	s_waitcnt lgkmcnt(0)
	s_barrier
	buffer_gl0_inv
	s_and_saveexec_b32 s0, vcc_lo
	s_cbranch_execz .LBB0_7
; %bb.6:
	v_mov_b32_e32 v0, 3
	v_lshlrev_b32_sdwa v0, v0, v73 dst_sel:DWORD dst_unused:UNUSED_PAD src0_sel:DWORD src1_sel:WORD_0
	ds_write2_b64 v0, v[20:21], v[22:23] offset1:1
	ds_write2_b64 v0, v[24:25], v[26:27] offset0:2 offset1:3
	ds_write2_b64 v0, v[32:33], v[34:35] offset0:4 offset1:5
	;; [unrolled: 1-line block ×5, first 2 shown]
	ds_write_b64 v0, v[67:68] offset:96
.LBB0_7:
	s_or_b32 exec_lo, exec_lo, s0
	s_load_dwordx2 s[4:5], s[4:5], 0x20
	v_cmp_gt_u16_e64 s0, 0x82, v70
	s_waitcnt lgkmcnt(0)
	s_barrier
	buffer_gl0_inv
	s_and_saveexec_b32 s1, s0
	s_cbranch_execz .LBB0_9
; %bb.8:
	v_add_nc_u32_e32 v0, 0x800, v69
	v_add_nc_u32_e32 v1, 0x1000, v69
	;; [unrolled: 1-line block ×4, first 2 shown]
	ds_read2_b64 v[20:23], v69 offset1:130
	ds_read2_b64 v[24:27], v0 offset0:4 offset1:134
	ds_read2_b64 v[32:35], v1 offset0:8 offset1:138
	;; [unrolled: 1-line block ×4, first 2 shown]
	ds_read_b64 v[36:37], v69 offset:10400
.LBB0_9:
	s_or_b32 exec_lo, exec_lo, s1
	v_and_b32_e32 v0, 0xff, v70
	v_mul_lo_u16 v0, 0x4f, v0
	v_lshrrev_b16 v72, 10, v0
	v_mul_lo_u16 v0, v72, 13
	v_sub_nc_u16 v0, v70, v0
	v_and_b32_e32 v71, 0xff, v0
	v_mul_u32_u24_e32 v0, 10, v71
	v_lshlrev_b32_e32 v16, 3, v0
	s_clause 0x4
	global_load_dwordx4 v[12:15], v16, s[2:3]
	global_load_dwordx4 v[4:7], v16, s[2:3] offset:16
	global_load_dwordx4 v[0:3], v16, s[2:3] offset:32
	;; [unrolled: 1-line block ×4, first 2 shown]
	s_waitcnt vmcnt(0) lgkmcnt(0)
	s_barrier
	buffer_gl0_inv
	v_mul_f32_e32 v58, v23, v13
	v_mul_f32_e32 v53, v22, v13
	;; [unrolled: 1-line block ×11, first 2 shown]
	v_fma_f32 v56, v26, v4, -v55
	v_fma_f32 v55, v32, v6, -v59
	;; [unrolled: 1-line block ×3, first 2 shown]
	v_fmac_f32_e32 v53, v23, v12
	v_fmac_f32_e32 v45, v37, v18
	v_fma_f32 v32, v36, v18, -v66
	v_mul_f32_e32 v51, v26, v5
	v_mul_f32_e32 v60, v35, v1
	;; [unrolled: 1-line block ×4, first 2 shown]
	v_fma_f32 v57, v24, v14, -v54
	v_fmac_f32_e32 v52, v25, v14
	v_fmac_f32_e32 v50, v33, v6
	;; [unrolled: 1-line block ×3, first 2 shown]
	v_fma_f32 v33, v30, v16, -v65
	v_sub_f32_e32 v66, v53, v45
	v_sub_f32_e32 v82, v58, v32
	v_mul_f32_e32 v49, v34, v1
	v_mul_f32_e32 v62, v43, v9
	;; [unrolled: 1-line block ×3, first 2 shown]
	v_fmac_f32_e32 v51, v27, v4
	v_fma_f32 v54, v34, v0, -v60
	v_fma_f32 v34, v28, v10, -v63
	v_fmac_f32_e32 v46, v29, v10
	v_add_f32_e32 v23, v58, v32
	v_sub_f32_e32 v65, v52, v44
	v_add_f32_e32 v28, v53, v45
	v_sub_f32_e32 v75, v57, v33
	v_mul_f32_e32 v63, 0xbf0a6770, v66
	v_mul_f32_e32 v77, 0xbf0a6770, v82
	;; [unrolled: 1-line block ×4, first 2 shown]
	v_fmac_f32_e32 v49, v35, v0
	v_fma_f32 v35, v42, v8, -v62
	v_fmac_f32_e32 v47, v43, v8
	v_add_f32_e32 v22, v57, v33
	v_add_f32_e32 v26, v52, v44
	v_sub_f32_e32 v74, v51, v46
	v_sub_f32_e32 v80, v56, v34
	v_mul_f32_e32 v62, 0xbf68dda4, v65
	v_mul_f32_e32 v76, 0xbf68dda4, v75
	v_fmamk_f32 v36, v23, 0x3f575c64, v63
	v_fma_f32 v37, 0x3f575c64, v28, -v77
	v_fma_f32 v40, v40, v2, -v61
	v_fmac_f32_e32 v48, v41, v2
	v_add_f32_e32 v24, v56, v34
	v_add_f32_e32 v29, v51, v46
	v_sub_f32_e32 v78, v50, v47
	v_sub_f32_e32 v83, v55, v35
	v_mul_f32_e32 v43, 0xbf7d64f0, v74
	v_mul_f32_e32 v60, 0xbf7d64f0, v80
	v_fmamk_f32 v61, v22, 0x3ed4b147, v62
	v_fma_f32 v84, 0x3ed4b147, v26, -v76
	v_add_f32_e32 v36, v20, v36
	v_add_f32_e32 v37, v21, v37
	;; [unrolled: 1-line block ×4, first 2 shown]
	v_sub_f32_e32 v79, v49, v48
	v_sub_f32_e32 v81, v54, v40
	v_mul_f32_e32 v41, 0xbf4178ce, v78
	v_mul_f32_e32 v59, 0xbf4178ce, v83
	v_fmamk_f32 v85, v24, 0xbe11bafb, v43
	v_fma_f32 v86, 0xbe11bafb, v29, -v60
	v_add_f32_e32 v36, v61, v36
	v_add_f32_e32 v37, v84, v37
	;; [unrolled: 1-line block ×4, first 2 shown]
	v_mul_f32_e32 v42, 0xbe903f40, v79
	v_mul_f32_e32 v61, 0xbe903f40, v81
	v_fmamk_f32 v84, v25, 0xbf27a4f4, v41
	v_fma_f32 v87, 0xbf27a4f4, v27, -v59
	v_add_f32_e32 v36, v85, v36
	v_add_f32_e32 v37, v86, v37
	v_fmamk_f32 v85, v30, 0xbf75a155, v42
	v_fma_f32 v86, 0xbf75a155, v31, -v61
	v_add_f32_e32 v36, v84, v36
	v_add_f32_e32 v37, v87, v37
	;; [unrolled: 1-line block ×4, first 2 shown]
	s_and_saveexec_b32 s1, s0
	s_cbranch_execz .LBB0_11
; %bb.10:
	v_mul_f32_e32 v84, 0xbf75a155, v28
	v_mul_f32_e32 v85, 0x3f575c64, v26
	;; [unrolled: 1-line block ×5, first 2 shown]
	v_fmamk_f32 v89, v82, 0x3e903f40, v84
	v_fmamk_f32 v92, v75, 0xbf0a6770, v85
	;; [unrolled: 1-line block ×3, first 2 shown]
	v_fmac_f32_e32 v84, 0xbe903f40, v82
	v_mul_f32_e32 v87, 0x3ed4b147, v27
	v_add_f32_e32 v89, v21, v89
	v_mul_f32_e32 v94, 0xbf4178ce, v74
	v_fmamk_f32 v95, v80, 0x3f4178ce, v86
	v_fmamk_f32 v96, v22, 0x3f575c64, v91
	v_add_f32_e32 v93, v20, v93
	v_add_f32_e32 v89, v92, v89
	v_fma_f32 v88, 0xbf75a155, v23, -v88
	v_add_f32_e32 v84, v21, v84
	v_fmac_f32_e32 v85, 0x3f0a6770, v75
	v_mul_f32_e32 v90, 0xbe11bafb, v31
	v_mul_f32_e32 v92, 0x3f68dda4, v78
	v_fmamk_f32 v97, v83, 0xbf68dda4, v87
	v_fmamk_f32 v98, v24, 0xbf27a4f4, v94
	v_add_f32_e32 v93, v96, v93
	v_add_f32_e32 v89, v95, v89
	;; [unrolled: 1-line block ×3, first 2 shown]
	v_fma_f32 v91, 0x3f575c64, v22, -v91
	v_add_f32_e32 v84, v85, v84
	v_fmac_f32_e32 v86, 0xbf4178ce, v80
	v_fmamk_f32 v95, v81, 0x3f7d64f0, v90
	v_add_f32_e32 v93, v98, v93
	v_add_f32_e32 v89, v97, v89
	v_fmamk_f32 v96, v25, 0x3ed4b147, v92
	v_mul_f32_e32 v97, 0xbf7d64f0, v79
	v_add_f32_e32 v88, v91, v88
	v_fma_f32 v91, 0xbf27a4f4, v24, -v94
	v_add_f32_e32 v86, v86, v84
	v_fmac_f32_e32 v87, 0x3f68dda4, v83
	v_add_f32_e32 v93, v96, v93
	v_fmamk_f32 v94, v30, 0xbe11bafb, v97
	v_add_f32_e32 v85, v95, v89
	v_add_f32_e32 v88, v91, v88
	v_fma_f32 v89, 0x3ed4b147, v25, -v92
	v_add_f32_e32 v86, v87, v86
	v_fmac_f32_e32 v90, 0xbf7d64f0, v81
	v_mul_f32_e32 v91, 0xbf4178ce, v82
	v_add_f32_e32 v84, v94, v93
	v_add_f32_e32 v88, v89, v88
	v_fma_f32 v89, 0xbe11bafb, v30, -v97
	v_mul_f32_e32 v92, 0xbf4178ce, v66
	v_add_f32_e32 v87, v90, v86
	v_fmamk_f32 v90, v28, 0xbf27a4f4, v91
	v_mul_f32_e32 v93, 0x3f7d64f0, v75
	v_add_f32_e32 v86, v89, v88
	v_fma_f32 v88, 0xbf27a4f4, v23, -v92
	v_mul_f32_e32 v94, 0x3f7d64f0, v65
	v_add_f32_e32 v89, v21, v90
	v_fmamk_f32 v90, v26, 0xbe11bafb, v93
	v_mul_f32_e32 v95, 0xbf0a6770, v80
	;; [unrolled: 6-line block ×9, first 2 shown]
	v_add_f32_e32 v96, v108, v96
	v_fma_f32 v108, 0x3f575c64, v25, -v111
	v_mul_f32_e32 v115, 0xbf4178ce, v75
	v_add_f32_e32 v90, v106, v90
	v_mul_f32_e32 v106, 0xbf68dda4, v66
	v_fmamk_f32 v114, v28, 0x3ed4b147, v82
	v_add_f32_e32 v75, v108, v96
	v_mul_f32_e32 v108, 0xbf4178ce, v65
	v_mul_f32_e32 v112, 0xbf4178ce, v81
	v_fma_f32 v96, 0x3ed4b147, v23, -v106
	v_add_f32_e32 v65, v21, v114
	v_fmamk_f32 v114, v26, 0xbf27a4f4, v115
	v_mul_f32_e32 v80, 0x3e903f40, v80
	v_fma_f32 v116, 0xbf27a4f4, v22, -v108
	v_add_f32_e32 v96, v20, v96
	v_mul_f32_e32 v117, 0x3e903f40, v74
	v_fmamk_f32 v66, v31, 0xbf27a4f4, v112
	v_add_f32_e32 v65, v114, v65
	v_fmamk_f32 v74, v29, 0xbf75a155, v80
	v_mul_f32_e32 v83, 0x3f7d64f0, v83
	v_add_f32_e32 v96, v116, v96
	v_fma_f32 v114, 0xbf75a155, v24, -v117
	v_mul_f32_e32 v78, 0x3f7d64f0, v78
	v_mul_f32_e32 v113, 0xbf4178ce, v79
	v_add_f32_e32 v65, v74, v65
	v_fmamk_f32 v74, v27, 0xbe11bafb, v83
	v_add_f32_e32 v66, v66, v90
	v_add_f32_e32 v90, v114, v96
	v_fma_f32 v96, 0xbe11bafb, v25, -v78
	v_mul_f32_e32 v81, 0x3f0a6770, v81
	v_mul_f32_e32 v79, 0x3f0a6770, v79
	v_fma_f32 v116, 0xbf27a4f4, v30, -v113
	v_add_f32_e32 v74, v74, v65
	v_mul_f32_e32 v65, 0x3f575c64, v28
	v_add_f32_e32 v90, v96, v90
	v_fmamk_f32 v114, v31, 0x3f575c64, v81
	v_fma_f32 v118, 0x3f575c64, v30, -v79
	v_add_f32_e32 v53, v21, v53
	v_mul_f32_e32 v96, 0x3ed4b147, v26
	v_add_f32_e32 v77, v77, v65
	v_add_f32_e32 v65, v116, v75
	;; [unrolled: 1-line block ×4, first 2 shown]
	v_mul_f32_e32 v90, 0x3f575c64, v23
	v_add_f32_e32 v52, v53, v52
	v_add_f32_e32 v58, v20, v58
	;; [unrolled: 1-line block ×4, first 2 shown]
	v_mul_f32_e32 v96, 0x3ed4b147, v22
	v_sub_f32_e32 v63, v90, v63
	v_add_f32_e32 v51, v52, v51
	v_add_f32_e32 v57, v58, v57
	v_add_f32_e32 v76, v76, v77
	v_mul_f32_e32 v77, 0xbe11bafb, v24
	v_sub_f32_e32 v62, v96, v62
	v_add_f32_e32 v63, v20, v63
	v_add_f32_e32 v50, v51, v50
	v_add_f32_e32 v51, v57, v56
	;; [unrolled: 5-line block ×4, first 2 shown]
	v_sub_f32_e32 v42, v52, v42
	v_fmac_f32_e32 v92, 0xbf27a4f4, v23
	v_add_f32_e32 v43, v41, v43
	v_add_f32_e32 v47, v48, v47
	;; [unrolled: 1-line block ×3, first 2 shown]
	v_fma_f32 v49, 0xbf27a4f4, v28, -v91
	v_fmac_f32_e32 v94, 0xbe11bafb, v22
	v_add_f32_e32 v40, v42, v43
	v_add_f32_e32 v42, v47, v46
	;; [unrolled: 1-line block ×4, first 2 shown]
	v_fma_f32 v46, 0xbe11bafb, v26, -v93
	v_fmac_f32_e32 v97, 0x3f575c64, v24
	v_add_f32_e32 v42, v42, v44
	v_add_f32_e32 v35, v35, v34
	;; [unrolled: 1-line block ×4, first 2 shown]
	v_fma_f32 v46, 0x3f575c64, v29, -v95
	v_add_f32_e32 v34, v42, v45
	v_add_f32_e32 v33, v35, v33
	;; [unrolled: 1-line block ×3, first 2 shown]
	v_fma_f32 v44, 0xbe11bafb, v28, -v102
	v_add_f32_e32 v42, v46, v43
	v_fma_f32 v43, 0xbf75a155, v27, -v98
	v_fma_f32 v28, 0x3ed4b147, v28, -v82
	v_add_f32_e32 v33, v33, v32
	v_add_f32_e32 v32, v97, v35
	v_fmac_f32_e32 v103, 0xbe11bafb, v23
	v_add_f32_e32 v35, v43, v42
	v_add_f32_e32 v42, v21, v44
	v_fma_f32 v43, 0xbf75a155, v26, -v104
	v_fma_f32 v44, 0x3ed4b147, v31, -v100
	v_fmac_f32_e32 v106, 0x3ed4b147, v23
	v_mul_f32_e32 v90, 0xbe11bafb, v29
	v_add_f32_e32 v21, v21, v28
	v_fma_f32 v26, 0xbf27a4f4, v26, -v115
	v_fmac_f32_e32 v99, 0xbf75a155, v25
	v_add_f32_e32 v45, v43, v42
	v_add_f32_e32 v43, v44, v35
	;; [unrolled: 1-line block ×3, first 2 shown]
	v_fmac_f32_e32 v105, 0xbf75a155, v22
	v_add_f32_e32 v20, v20, v106
	v_fmac_f32_e32 v108, 0xbf27a4f4, v22
	v_mul_f32_e32 v96, 0xbf27a4f4, v27
	v_add_f32_e32 v60, v60, v90
	v_add_f32_e32 v21, v26, v21
	v_fma_f32 v22, 0xbf75a155, v29, -v80
	v_add_f32_e32 v32, v99, v32
	v_fmac_f32_e32 v101, 0x3ed4b147, v30
	v_fma_f32 v46, 0x3ed4b147, v29, -v107
	v_add_f32_e32 v35, v105, v35
	v_fmac_f32_e32 v109, 0x3ed4b147, v24
	v_add_f32_e32 v20, v108, v20
	v_fmac_f32_e32 v117, 0xbf75a155, v24
	v_mul_f32_e32 v58, 0xbf75a155, v31
	v_add_f32_e32 v56, v60, v76
	v_add_f32_e32 v57, v59, v96
	;; [unrolled: 1-line block ×3, first 2 shown]
	v_mov_b32_e32 v22, 0x8f
	v_add_f32_e32 v42, v101, v32
	v_add_f32_e32 v32, v46, v45
	v_fma_f32 v44, 0x3f575c64, v27, -v110
	v_add_f32_e32 v28, v109, v35
	v_fmac_f32_e32 v111, 0x3f575c64, v25
	v_fma_f32 v27, 0xbe11bafb, v27, -v83
	v_add_f32_e32 v20, v117, v20
	v_fmac_f32_e32 v78, 0xbe11bafb, v25
	v_add_f32_e32 v51, v57, v56
	v_add_f32_e32 v50, v61, v58
	v_mul_u32_u24_sdwa v22, v72, v22 dst_sel:DWORD dst_unused:UNUSED_PAD src0_sel:WORD_0 src1_sel:DWORD
	v_add_f32_e32 v23, v44, v32
	v_fma_f32 v26, 0xbf27a4f4, v31, -v112
	v_add_f32_e32 v24, v111, v28
	v_fmac_f32_e32 v113, 0xbf27a4f4, v30
	v_add_f32_e32 v25, v27, v21
	v_fma_f32 v27, 0x3f575c64, v31, -v81
	v_add_f32_e32 v28, v78, v20
	v_fmac_f32_e32 v79, 0x3f575c64, v30
	v_add_f32_e32 v41, v50, v51
	v_add_lshl_u32 v29, v22, v71, 3
	v_add_f32_e32 v21, v26, v23
	v_add_f32_e32 v20, v113, v24
	;; [unrolled: 1-line block ×4, first 2 shown]
	ds_write2_b64 v29, v[33:34], v[40:41] offset1:13
	ds_write2_b64 v29, v[74:75], v[65:66] offset0:26 offset1:39
	ds_write2_b64 v29, v[88:89], v[86:87] offset0:52 offset1:65
	;; [unrolled: 1-line block ×4, first 2 shown]
	ds_write_b64 v29, v[36:37] offset:1040
.LBB0_11:
	s_or_b32 exec_lo, exec_lo, s1
	v_mad_u64_u32 v[40:41], null, 0x48, v70, s[2:3]
	s_load_dwordx4 s[8:11], s[4:5], 0x0
	s_waitcnt lgkmcnt(0)
	s_barrier
	buffer_gl0_inv
	v_add_nc_u32_e32 v42, 0x1800, v69
	v_add_nc_u32_e32 v74, 0x2200, v69
	s_clause 0x4
	global_load_dwordx4 v[32:35], v[40:41], off offset:1040
	global_load_dwordx4 v[28:31], v[40:41], off offset:1056
	;; [unrolled: 1-line block ×4, first 2 shown]
	global_load_dwordx2 v[65:66], v[40:41], off offset:1104
	v_add_nc_u32_e32 v40, 0x800, v69
	v_add_nc_u32_e32 v41, 0x1000, v69
	ds_read2_b64 v[43:46], v69 offset1:143
	ds_read2_b64 v[47:50], v40 offset0:30 offset1:173
	ds_read2_b64 v[51:54], v41 offset0:60 offset1:203
	ds_read2_b64 v[55:58], v42 offset0:90 offset1:233
	ds_read2_b64 v[59:62], v74 offset0:56 offset1:199
	s_waitcnt vmcnt(4) lgkmcnt(4)
	v_mul_f32_e32 v63, v46, v33
	v_mul_f32_e32 v75, v45, v33
	s_waitcnt lgkmcnt(3)
	v_mul_f32_e32 v76, v48, v35
	v_mul_f32_e32 v77, v47, v35
	s_waitcnt vmcnt(3)
	v_mul_f32_e32 v78, v50, v29
	v_mul_f32_e32 v79, v49, v29
	s_waitcnt lgkmcnt(2)
	v_mul_f32_e32 v80, v52, v31
	v_mul_f32_e32 v81, v51, v31
	s_waitcnt vmcnt(2)
	;; [unrolled: 6-line block ×4, first 2 shown]
	v_mul_f32_e32 v90, v62, v66
	v_mul_f32_e32 v91, v61, v66
	v_fma_f32 v63, v45, v32, -v63
	v_fmac_f32_e32 v75, v46, v32
	v_fma_f32 v45, v47, v34, -v76
	v_fmac_f32_e32 v77, v48, v34
	;; [unrolled: 2-line block ×9, first 2 shown]
	v_add_f32_e32 v53, v43, v45
	v_add_f32_e32 v54, v47, v49
	v_sub_f32_e32 v55, v77, v89
	v_sub_f32_e32 v57, v45, v47
	;; [unrolled: 1-line block ×3, first 2 shown]
	v_add_f32_e32 v59, v45, v51
	v_sub_f32_e32 v60, v47, v45
	v_sub_f32_e32 v61, v49, v51
	v_add_f32_e32 v62, v44, v77
	v_add_f32_e32 v76, v81, v85
	v_sub_f32_e32 v80, v77, v81
	v_sub_f32_e32 v82, v89, v85
	v_add_f32_e32 v84, v77, v89
	v_sub_f32_e32 v77, v81, v77
	v_sub_f32_e32 v86, v85, v89
	v_add_f32_e32 v88, v63, v46
	v_add_f32_e32 v90, v48, v50
	v_add_f32_e32 v96, v46, v52
	v_add_f32_e32 v99, v75, v79
	v_add_f32_e32 v100, v83, v87
	v_add_f32_e32 v104, v79, v91
	v_sub_f32_e32 v78, v47, v49
	v_sub_f32_e32 v92, v79, v91
	;; [unrolled: 1-line block ×7, first 2 shown]
	v_add_f32_e32 v47, v53, v47
	v_fma_f32 v106, -0.5, v54, v43
	v_add_f32_e32 v53, v57, v58
	v_fma_f32 v43, -0.5, v59, v43
	v_add_f32_e32 v54, v60, v61
	v_add_f32_e32 v57, v62, v81
	v_fma_f32 v59, -0.5, v76, v44
	v_add_f32_e32 v58, v80, v82
	v_fma_f32 v76, -0.5, v84, v44
	v_add_f32_e32 v44, v77, v86
	v_add_f32_e32 v48, v88, v48
	v_fma_f32 v60, -0.5, v90, v63
	v_fmac_f32_e32 v63, -0.5, v96
	v_add_f32_e32 v77, v99, v83
	v_fma_f32 v80, -0.5, v100, v75
	v_fmac_f32_e32 v75, -0.5, v104
	v_sub_f32_e32 v56, v81, v85
	v_sub_f32_e32 v95, v52, v50
	;; [unrolled: 1-line block ×7, first 2 shown]
	v_add_f32_e32 v57, v57, v85
	v_add_f32_e32 v48, v48, v50
	v_fmamk_f32 v50, v92, 0x3f737871, v60
	v_fmac_f32_e32 v60, 0xbf737871, v92
	v_fmamk_f32 v85, v93, 0xbf737871, v63
	v_fmac_f32_e32 v63, 0x3f737871, v93
	v_add_f32_e32 v77, v77, v87
	v_fmamk_f32 v86, v46, 0xbf737871, v80
	v_fmac_f32_e32 v80, 0x3f737871, v46
	v_fmamk_f32 v87, v101, 0x3f737871, v75
	v_fmac_f32_e32 v75, 0xbf737871, v101
	v_sub_f32_e32 v45, v45, v51
	v_add_f32_e32 v61, v94, v95
	v_add_f32_e32 v62, v97, v98
	;; [unrolled: 1-line block ×5, first 2 shown]
	v_fmamk_f32 v49, v55, 0x3f737871, v106
	v_fmac_f32_e32 v106, 0xbf737871, v55
	v_fmamk_f32 v82, v56, 0xbf737871, v43
	v_fmac_f32_e32 v43, 0x3f737871, v56
	;; [unrolled: 2-line block ×3, first 2 shown]
	v_fmac_f32_e32 v50, 0x3f167918, v93
	v_fmac_f32_e32 v60, 0xbf167918, v93
	;; [unrolled: 1-line block ×8, first 2 shown]
	v_fmamk_f32 v83, v45, 0xbf737871, v59
	v_fmac_f32_e32 v59, 0x3f737871, v45
	v_add_f32_e32 v47, v47, v51
	v_fmac_f32_e32 v49, 0x3f167918, v56
	v_fmac_f32_e32 v106, 0xbf167918, v56
	v_fmac_f32_e32 v82, 0x3f167918, v55
	v_fmac_f32_e32 v43, 0xbf167918, v55
	v_add_f32_e32 v51, v57, v89
	v_fmac_f32_e32 v84, 0xbf167918, v45
	v_fmac_f32_e32 v76, 0x3f167918, v45
	v_add_f32_e32 v48, v48, v52
	v_add_f32_e32 v52, v77, v91
	v_fmac_f32_e32 v50, 0x3e9e377a, v61
	v_fmac_f32_e32 v60, 0x3e9e377a, v61
	;; [unrolled: 1-line block ×16, first 2 shown]
	v_add_f32_e32 v44, v47, v48
	v_add_f32_e32 v45, v51, v52
	v_sub_f32_e32 v54, v47, v48
	v_sub_f32_e32 v55, v51, v52
	v_mul_f32_e32 v48, 0x3f167918, v86
	v_mul_f32_e32 v51, 0x3f737871, v87
	v_mul_f32_e32 v46, 0x3e9e377a, v63
	v_mul_f32_e32 v47, 0x3f4f1bbd, v60
	v_mul_f32_e32 v57, 0xbf167918, v50
	v_mul_f32_e32 v77, 0xbf737871, v85
	v_mul_f32_e32 v52, 0x3e9e377a, v75
	v_mul_f32_e32 v53, 0x3f4f1bbd, v80
	v_fmac_f32_e32 v83, 0x3e9e377a, v58
	v_fmac_f32_e32 v59, 0x3e9e377a, v58
	;; [unrolled: 1-line block ×4, first 2 shown]
	v_fma_f32 v56, 0x3f737871, v75, -v46
	v_fma_f32 v58, 0x3f167918, v80, -v47
	v_fmac_f32_e32 v57, 0x3f4f1bbd, v86
	v_fmac_f32_e32 v77, 0x3e9e377a, v87
	v_fma_f32 v75, 0xbf737871, v63, -v52
	v_fma_f32 v78, 0xbf167918, v60, -v53
	v_add_f32_e32 v46, v49, v48
	v_add_f32_e32 v60, v82, v51
	;; [unrolled: 1-line block ×8, first 2 shown]
	v_sub_f32_e32 v48, v49, v48
	v_sub_f32_e32 v50, v82, v51
	;; [unrolled: 1-line block ×8, first 2 shown]
	ds_write2_b64 v69, v[44:45], v[46:47] offset1:143
	ds_write2_b64 v40, v[60:61], v[62:63] offset0:30 offset1:173
	ds_write2_b64 v41, v[52:53], v[54:55] offset0:60 offset1:203
	;; [unrolled: 1-line block ×4, first 2 shown]
	s_waitcnt lgkmcnt(0)
	s_barrier
	buffer_gl0_inv
	s_and_saveexec_b32 s14, vcc_lo
	s_cbranch_execz .LBB0_13
; %bb.12:
	v_add_co_u32 v43, s1, s12, v69
	v_add_co_ci_u32_e64 v86, null, s13, 0, s1
	v_add_nc_u32_e32 v123, 0x2400, v69
	v_add_co_u32 v74, s1, 0x2800, v43
	v_add_co_ci_u32_e64 v75, s1, 0, v86, s1
	v_add_co_u32 v76, s1, 0x2cb0, v43
	v_add_co_u32 v78, s2, 0x3000, v43
	global_load_dwordx2 v[74:75], v[74:75], off offset:1200
	v_add_co_u32 v80, s3, 0x3800, v43
	v_add_co_ci_u32_e64 v77, s1, 0, v86, s1
	v_add_co_u32 v82, s4, 0x4000, v43
	v_add_co_ci_u32_e64 v79, s1, 0, v86, s2
	;; [unrolled: 2-line block ×3, first 2 shown]
	v_add_co_ci_u32_e64 v83, s1, 0, v86, s4
	v_add_co_ci_u32_e64 v85, s1, 0, v86, s5
	s_clause 0x1
	global_load_dwordx2 v[98:99], v[76:77], off offset:880
	global_load_dwordx2 v[100:101], v[76:77], off offset:1760
	v_add_co_u32 v76, s1, 0x5000, v43
	s_clause 0x3
	global_load_dwordx2 v[102:103], v[78:79], off offset:1792
	global_load_dwordx2 v[104:105], v[80:81], off offset:624
	;; [unrolled: 1-line block ×4, first 2 shown]
	v_add_co_ci_u32_e64 v77, s1, 0, v86, s1
	s_clause 0x5
	global_load_dwordx2 v[110:111], v[82:83], off offset:1216
	global_load_dwordx2 v[112:113], v[84:85], off offset:48
	;; [unrolled: 1-line block ×6, first 2 shown]
	ds_read_b64 v[76:77], v69
	s_waitcnt vmcnt(12) lgkmcnt(0)
	v_mul_f32_e32 v43, v77, v75
	v_mul_f32_e32 v79, v76, v75
	v_fma_f32 v78, v76, v74, -v43
	v_fmac_f32_e32 v79, v77, v74
	v_add_nc_u32_e32 v43, 0x1c00, v69
	ds_write_b64 v69, v[78:79]
	ds_read2_b64 v[74:77], v69 offset0:110 offset1:220
	ds_read2_b64 v[78:81], v40 offset0:74 offset1:184
	;; [unrolled: 1-line block ×6, first 2 shown]
	s_waitcnt vmcnt(11) lgkmcnt(5)
	v_mul_f32_e32 v124, v75, v99
	v_mul_f32_e32 v122, v74, v99
	s_waitcnt vmcnt(10)
	v_mul_f32_e32 v125, v77, v101
	v_mul_f32_e32 v99, v76, v101
	s_waitcnt vmcnt(9) lgkmcnt(4)
	v_mul_f32_e32 v126, v79, v103
	v_mul_f32_e32 v101, v78, v103
	s_waitcnt vmcnt(8)
	v_mul_f32_e32 v127, v81, v105
	v_mul_f32_e32 v103, v80, v105
	;; [unrolled: 6-line block ×6, first 2 shown]
	v_fma_f32 v121, v74, v98, -v124
	v_fmac_f32_e32 v122, v75, v98
	v_fma_f32 v98, v76, v100, -v125
	v_fmac_f32_e32 v99, v77, v100
	;; [unrolled: 2-line block ×12, first 2 shown]
	ds_write2_b64 v69, v[121:122], v[98:99] offset0:110 offset1:220
	ds_write2_b64 v40, v[100:101], v[102:103] offset0:74 offset1:184
	;; [unrolled: 1-line block ×6, first 2 shown]
.LBB0_13:
	s_or_b32 exec_lo, exec_lo, s14
	s_waitcnt lgkmcnt(0)
	s_barrier
	buffer_gl0_inv
	s_and_saveexec_b32 s1, vcc_lo
	s_cbranch_execz .LBB0_15
; %bb.14:
	v_add_nc_u32_e32 v36, 0x400, v69
	v_add_nc_u32_e32 v37, 0xc00, v69
	;; [unrolled: 1-line block ×5, first 2 shown]
	ds_read2_b64 v[44:47], v69 offset1:110
	ds_read2_b64 v[60:63], v36 offset0:92 offset1:202
	ds_read2_b64 v[52:55], v37 offset0:56 offset1:166
	;; [unrolled: 1-line block ×5, first 2 shown]
	ds_read_b64 v[67:68], v69 offset:10560
.LBB0_15:
	s_or_b32 exec_lo, exec_lo, s1
	s_waitcnt lgkmcnt(6)
	v_add_f32_e32 v41, v47, v45
	v_add_f32_e32 v40, v46, v44
	s_waitcnt lgkmcnt(0)
	v_sub_f32_e32 v42, v47, v68
	v_add_f32_e32 v78, v67, v46
	v_add_f32_e32 v79, v68, v47
	;; [unrolled: 1-line block ×4, first 2 shown]
	v_mul_f32_e32 v80, 0xbf6f5d39, v42
	v_sub_f32_e32 v43, v46, v67
	v_mul_f32_e32 v81, 0xbeb58ec6, v79
	v_add_f32_e32 v41, v63, v41
	v_add_f32_e32 v40, v62, v40
	v_mul_f32_e32 v82, 0xbf29c268, v42
	v_fmamk_f32 v89, v78, 0xbeb58ec6, v80
	v_fma_f32 v80, 0xbeb58ec6, v78, -v80
	v_add_f32_e32 v41, v53, v41
	v_add_f32_e32 v40, v52, v40
	v_fmamk_f32 v90, v43, 0x3f6f5d39, v81
	v_fmac_f32_e32 v81, 0xbf6f5d39, v43
	v_add_f32_e32 v91, v44, v80
	v_add_f32_e32 v41, v55, v41
	;; [unrolled: 1-line block ×3, first 2 shown]
	v_mul_f32_e32 v74, 0xbeedf032, v42
	v_mul_f32_e32 v75, 0xbeedf032, v43
	v_add_f32_e32 v92, v45, v81
	v_add_f32_e32 v41, v49, v41
	;; [unrolled: 1-line block ×3, first 2 shown]
	v_fma_f32 v81, 0xbf3f9e67, v78, -v82
	v_sub_f32_e32 v98, v61, v39
	v_mul_f32_e32 v76, 0xbf52af12, v42
	v_add_f32_e32 v41, v51, v41
	v_add_f32_e32 v40, v50, v40
	v_mul_f32_e32 v77, 0xbf52af12, v43
	v_mul_f32_e32 v47, 0x3df6dbef, v79
	v_fmamk_f32 v83, v78, 0x3f62ad3f, v74
	v_add_f32_e32 v41, v57, v41
	v_add_f32_e32 v40, v56, v40
	v_fma_f32 v84, 0x3f62ad3f, v79, -v75
	v_add_f32_e32 v96, v44, v81
	v_add_f32_e32 v81, v39, v61
	;; [unrolled: 1-line block ×4, first 2 shown]
	v_fmamk_f32 v85, v78, 0x3f116cb1, v76
	v_fma_f32 v86, 0x3f116cb1, v79, -v77
	v_fmamk_f32 v88, v43, 0x3f7e222b, v47
	v_add_f32_e32 v41, v37, v41
	v_add_f32_e32 v40, v36, v40
	v_fmac_f32_e32 v47, 0xbf7e222b, v43
	v_add_f32_e32 v83, v44, v83
	v_add_f32_e32 v84, v45, v84
	;; [unrolled: 1-line block ×4, first 2 shown]
	v_mul_f32_e32 v46, 0xbf7e222b, v42
	v_add_f32_e32 v85, v44, v85
	v_add_f32_e32 v86, v45, v86
	;; [unrolled: 1-line block ×3, first 2 shown]
	v_mul_f32_e32 v68, 0xbf3f9e67, v79
	v_add_f32_e32 v40, v67, v40
	v_fmamk_f32 v67, v78, 0xbf3f9e67, v82
	v_fmamk_f32 v87, v78, 0x3df6dbef, v46
	v_add_f32_e32 v47, v45, v47
	v_fmamk_f32 v80, v43, 0x3f29c268, v68
	v_fmac_f32_e32 v68, 0xbf29c268, v43
	v_add_f32_e32 v93, v44, v67
	v_mul_f32_e32 v67, 0xbf788fa5, v79
	v_mul_f32_e32 v99, 0xbe750f2a, v98
	v_add_f32_e32 v95, v45, v80
	v_add_f32_e32 v80, v38, v60
	v_sub_f32_e32 v38, v60, v38
	v_fmamk_f32 v94, v43, 0x3e750f2a, v67
	v_fmac_f32_e32 v67, 0xbe750f2a, v43
	v_mul_f32_e32 v60, 0xbf52af12, v98
	v_add_f32_e32 v97, v45, v68
	v_mul_f32_e32 v61, 0xbf52af12, v38
	v_mul_f32_e32 v68, 0xbf6f5d39, v38
	v_add_f32_e32 v43, v45, v67
	v_fmamk_f32 v39, v80, 0x3f116cb1, v60
	v_mul_f32_e32 v67, 0xbf6f5d39, v98
	v_fma_f32 v100, 0x3f116cb1, v81, -v61
	v_fma_f32 v101, 0xbeb58ec6, v81, -v68
	;; [unrolled: 1-line block ×3, first 2 shown]
	v_add_f32_e32 v39, v39, v83
	v_fmamk_f32 v83, v80, 0xbeb58ec6, v67
	v_add_f32_e32 v100, v100, v84
	v_mul_f32_e32 v84, 0xbf788fa5, v81
	v_add_f32_e32 v86, v101, v86
	v_mul_f32_e32 v101, 0xbf3f9e67, v81
	v_add_f32_e32 v103, v83, v85
	v_add_f32_e32 v87, v44, v87
	v_fmamk_f32 v85, v38, 0x3e750f2a, v84
	v_fmac_f32_e32 v84, 0xbe750f2a, v38
	v_add_f32_e32 v88, v45, v88
	v_add_f32_e32 v90, v45, v90
	v_fmamk_f32 v102, v80, 0xbf788fa5, v99
	v_mul_f32_e32 v83, 0x3f29c268, v98
	v_add_f32_e32 v47, v84, v47
	v_fmamk_f32 v84, v38, 0xbf29c268, v101
	v_add_f32_e32 v46, v44, v46
	v_mul_f32_e32 v42, 0xbe750f2a, v42
	v_add_f32_e32 v87, v102, v87
	v_fma_f32 v99, 0xbf788fa5, v80, -v99
	v_fmamk_f32 v102, v80, 0xbf3f9e67, v83
	v_add_f32_e32 v88, v85, v88
	v_mul_f32_e32 v85, 0x3f7e222b, v98
	v_fma_f32 v83, 0xbf3f9e67, v80, -v83
	v_add_f32_e32 v90, v84, v90
	v_mul_f32_e32 v84, 0x3df6dbef, v81
	v_fmamk_f32 v82, v78, 0xbf788fa5, v42
	v_add_f32_e32 v46, v99, v46
	v_fmac_f32_e32 v101, 0x3f29c268, v38
	v_fmamk_f32 v99, v80, 0x3df6dbef, v85
	v_add_f32_e32 v91, v83, v91
	v_mul_f32_e32 v83, 0x3eedf032, v98
	v_fmamk_f32 v98, v38, 0xbf7e222b, v84
	v_add_f32_e32 v82, v44, v82
	v_fma_f32 v42, 0xbf788fa5, v78, -v42
	v_add_f32_e32 v92, v101, v92
	v_add_f32_e32 v93, v99, v93
	v_fma_f32 v85, 0x3df6dbef, v80, -v85
	v_fmac_f32_e32 v84, 0x3f7e222b, v38
	v_fmamk_f32 v99, v80, 0x3f62ad3f, v83
	v_add_f32_e32 v95, v98, v95
	v_mul_f32_e32 v98, 0x3f62ad3f, v81
	v_sub_f32_e32 v101, v63, v37
	v_add_f32_e32 v94, v45, v94
	v_add_f32_e32 v42, v44, v42
	v_add_f32_e32 v96, v85, v96
	v_add_f32_e32 v97, v84, v97
	v_add_f32_e32 v99, v99, v82
	v_fmamk_f32 v84, v38, 0xbeedf032, v98
	v_fma_f32 v85, 0x3f62ad3f, v80, -v83
	v_add_f32_e32 v83, v36, v62
	v_mul_f32_e32 v82, 0xbf7e222b, v101
	v_sub_f32_e32 v36, v62, v36
	v_add_f32_e32 v89, v44, v89
	v_fmac_f32_e32 v98, 0x3eedf032, v38
	v_add_f32_e32 v38, v84, v94
	v_add_f32_e32 v42, v85, v42
	v_fmamk_f32 v94, v83, 0x3df6dbef, v82
	v_add_f32_e32 v85, v37, v63
	v_mul_f32_e32 v62, 0xbf7e222b, v36
	v_mul_f32_e32 v84, 0xbe750f2a, v36
	v_add_f32_e32 v89, v102, v89
	v_mul_f32_e32 v63, 0xbe750f2a, v101
	v_add_f32_e32 v37, v94, v39
	v_mul_f32_e32 v39, 0x3f6f5d39, v101
	v_fma_f32 v94, 0x3df6dbef, v85, -v62
	v_fma_f32 v102, 0xbf788fa5, v85, -v84
	v_mul_f32_e32 v104, 0xbeb58ec6, v85
	v_add_f32_e32 v43, v98, v43
	v_fmamk_f32 v98, v83, 0xbf788fa5, v63
	v_fmamk_f32 v105, v83, 0xbeb58ec6, v39
	v_add_f32_e32 v94, v94, v100
	v_add_f32_e32 v100, v102, v86
	v_fmamk_f32 v86, v36, 0xbf6f5d39, v104
	v_add_f32_e32 v98, v98, v103
	v_add_f32_e32 v102, v105, v87
	v_fma_f32 v39, 0xbeb58ec6, v83, -v39
	v_mul_f32_e32 v87, 0x3eedf032, v101
	v_fmac_f32_e32 v104, 0x3f6f5d39, v36
	v_add_f32_e32 v103, v86, v88
	v_mul_f32_e32 v86, 0x3f62ad3f, v85
	v_add_f32_e32 v39, v39, v46
	v_fmamk_f32 v46, v83, 0x3f62ad3f, v87
	v_add_f32_e32 v47, v104, v47
	v_mul_f32_e32 v88, 0xbf52af12, v101
	v_fmamk_f32 v104, v36, 0xbeedf032, v86
	v_fma_f32 v87, 0x3f62ad3f, v83, -v87
	v_add_f32_e32 v46, v46, v89
	v_fmac_f32_e32 v86, 0x3eedf032, v36
	v_fmamk_f32 v89, v83, 0x3f116cb1, v88
	v_add_f32_e32 v104, v104, v90
	v_add_f32_e32 v105, v87, v91
	v_mul_f32_e32 v87, 0x3f116cb1, v85
	v_mul_f32_e32 v90, 0xbf3f9e67, v85
	v_add_f32_e32 v92, v86, v92
	v_add_f32_e32 v93, v89, v93
	v_mul_f32_e32 v86, 0xbf29c268, v101
	v_fmamk_f32 v89, v36, 0x3f52af12, v87
	v_fmac_f32_e32 v87, 0xbf52af12, v36
	v_fmamk_f32 v101, v36, 0x3f29c268, v90
	v_fmac_f32_e32 v90, 0xbf29c268, v36
	v_sub_f32_e32 v36, v52, v58
	v_fma_f32 v88, 0x3f116cb1, v83, -v88
	v_add_f32_e32 v97, v87, v97
	v_add_f32_e32 v38, v101, v38
	v_sub_f32_e32 v101, v53, v59
	v_fma_f32 v87, 0xbf3f9e67, v83, -v86
	v_fmamk_f32 v91, v83, 0xbf3f9e67, v86
	v_add_f32_e32 v95, v89, v95
	v_add_f32_e32 v89, v58, v52
	v_mul_f32_e32 v86, 0xbf6f5d39, v101
	v_add_f32_e32 v42, v87, v42
	v_add_f32_e32 v43, v90, v43
	;; [unrolled: 1-line block ×3, first 2 shown]
	v_mul_f32_e32 v87, 0xbf6f5d39, v36
	v_add_f32_e32 v96, v88, v96
	v_fmamk_f32 v52, v89, 0xbeb58ec6, v86
	v_mul_f32_e32 v88, 0x3f29c268, v101
	v_mul_f32_e32 v53, 0x3eedf032, v101
	v_fma_f32 v58, 0xbeb58ec6, v90, -v87
	v_add_f32_e32 v99, v91, v99
	v_mul_f32_e32 v91, 0x3f29c268, v36
	v_add_f32_e32 v37, v52, v37
	v_fmamk_f32 v52, v89, 0xbf3f9e67, v88
	v_fmamk_f32 v106, v89, 0x3f62ad3f, v53
	v_add_f32_e32 v58, v58, v94
	v_mul_f32_e32 v94, 0x3f62ad3f, v90
	v_fma_f32 v59, 0xbf3f9e67, v90, -v91
	v_add_f32_e32 v52, v52, v98
	v_add_f32_e32 v98, v106, v102
	v_fma_f32 v53, 0x3f62ad3f, v89, -v53
	v_fmamk_f32 v102, v36, 0xbeedf032, v94
	v_fmac_f32_e32 v94, 0x3eedf032, v36
	v_mul_f32_e32 v106, 0x3df6dbef, v90
	v_add_f32_e32 v59, v59, v100
	v_mul_f32_e32 v100, 0xbf7e222b, v101
	v_add_f32_e32 v39, v53, v39
	v_add_f32_e32 v47, v94, v47
	v_fmamk_f32 v53, v36, 0x3f7e222b, v106
	v_mul_f32_e32 v94, 0x3e750f2a, v101
	v_fmamk_f32 v107, v89, 0x3df6dbef, v100
	v_fma_f32 v100, 0x3df6dbef, v89, -v100
	v_fmac_f32_e32 v106, 0xbf7e222b, v36
	v_add_f32_e32 v53, v53, v104
	v_fmamk_f32 v104, v89, 0xbf788fa5, v94
	v_add_f32_e32 v102, v102, v103
	v_mul_f32_e32 v103, 0xbf788fa5, v90
	v_add_f32_e32 v100, v100, v105
	v_add_f32_e32 v105, v106, v92
	v_mul_f32_e32 v92, 0x3f52af12, v101
	v_add_f32_e32 v104, v104, v93
	v_fma_f32 v93, 0xbf788fa5, v89, -v94
	v_mul_f32_e32 v106, 0x3f116cb1, v90
	v_add_f32_e32 v46, v107, v46
	v_fmamk_f32 v101, v36, 0xbe750f2a, v103
	v_fmamk_f32 v94, v89, 0x3f116cb1, v92
	v_add_f32_e32 v107, v93, v96
	v_sub_f32_e32 v108, v55, v57
	v_fmamk_f32 v93, v36, 0xbf52af12, v106
	v_fmac_f32_e32 v103, 0x3e750f2a, v36
	v_add_f32_e32 v101, v101, v95
	v_add_f32_e32 v99, v94, v99
	v_fma_f32 v94, 0x3f116cb1, v89, -v92
	v_fmac_f32_e32 v106, 0x3f52af12, v36
	v_add_f32_e32 v95, v56, v54
	v_mul_f32_e32 v92, 0xbf29c268, v108
	v_add_f32_e32 v36, v93, v38
	v_sub_f32_e32 v38, v54, v56
	v_add_f32_e32 v103, v103, v97
	v_add_f32_e32 v42, v94, v42
	v_fmamk_f32 v54, v95, 0xbf3f9e67, v92
	v_add_f32_e32 v97, v57, v55
	v_mul_f32_e32 v94, 0x3f7e222b, v108
	v_mul_f32_e32 v96, 0x3f7e222b, v38
	v_add_f32_e32 v43, v106, v43
	v_add_f32_e32 v37, v54, v37
	v_mul_f32_e32 v54, 0xbf52af12, v108
	v_fmamk_f32 v56, v95, 0x3df6dbef, v94
	v_fma_f32 v57, 0x3df6dbef, v97, -v96
	v_mul_f32_e32 v106, 0x3f116cb1, v97
	v_mul_f32_e32 v93, 0xbf29c268, v38
	v_fmamk_f32 v109, v95, 0x3f116cb1, v54
	v_add_f32_e32 v52, v56, v52
	v_add_f32_e32 v56, v57, v59
	v_fmamk_f32 v57, v38, 0x3f52af12, v106
	v_fma_f32 v54, 0x3f116cb1, v95, -v54
	v_mul_f32_e32 v59, 0x3e750f2a, v108
	v_fmac_f32_e32 v106, 0xbf52af12, v38
	v_fma_f32 v55, 0xbf3f9e67, v97, -v93
	v_add_f32_e32 v57, v57, v102
	v_add_f32_e32 v39, v54, v39
	v_fmamk_f32 v54, v95, 0xbf788fa5, v59
	v_add_f32_e32 v106, v106, v47
	v_mul_f32_e32 v47, 0x3eedf032, v108
	v_add_f32_e32 v55, v55, v58
	v_add_f32_e32 v58, v109, v98
	v_mul_f32_e32 v98, 0xbf788fa5, v97
	v_fma_f32 v59, 0xbf788fa5, v95, -v59
	v_add_f32_e32 v54, v54, v46
	v_fmamk_f32 v46, v95, 0x3f62ad3f, v47
	v_sub_f32_e32 v113, v49, v51
	v_fmamk_f32 v102, v38, 0xbe750f2a, v98
	v_fmac_f32_e32 v98, 0x3e750f2a, v38
	v_add_f32_e32 v109, v59, v100
	v_mul_f32_e32 v59, 0x3f62ad3f, v97
	v_add_f32_e32 v104, v46, v104
	v_mul_f32_e32 v46, 0xbf6f5d39, v108
	v_mul_f32_e32 v100, 0xbeb58ec6, v97
	v_add_f32_e32 v53, v102, v53
	v_add_f32_e32 v105, v98, v105
	v_fmamk_f32 v98, v38, 0xbeedf032, v59
	v_fmac_f32_e32 v59, 0x3eedf032, v38
	v_fmamk_f32 v102, v95, 0xbeb58ec6, v46
	v_fmamk_f32 v108, v38, 0x3f6f5d39, v100
	v_sub_f32_e32 v114, v48, v50
	v_add_f32_e32 v110, v98, v101
	v_add_f32_e32 v111, v59, v103
	v_add_f32_e32 v112, v102, v99
	v_add_f32_e32 v108, v108, v36
	v_fma_f32 v36, 0xbeb58ec6, v95, -v46
	v_fmac_f32_e32 v100, 0xbf6f5d39, v38
	v_add_f32_e32 v103, v50, v48
	v_mul_f32_e32 v98, 0xbe750f2a, v113
	v_add_f32_e32 v102, v51, v49
	v_mul_f32_e32 v99, 0xbe750f2a, v114
	v_add_f32_e32 v115, v36, v42
	v_add_f32_e32 v116, v100, v43
	v_fmamk_f32 v36, v103, 0xbf788fa5, v98
	v_mul_f32_e32 v100, 0x3eedf032, v113
	v_mul_f32_e32 v101, 0x3eedf032, v114
	v_fma_f32 v38, 0xbf788fa5, v102, -v99
	v_mul_f32_e32 v49, 0xbf29c268, v113
	v_fma_f32 v47, 0x3f62ad3f, v95, -v47
	v_add_f32_e32 v42, v36, v37
	v_fmamk_f32 v36, v103, 0x3f62ad3f, v100
	v_fma_f32 v37, 0x3f62ad3f, v102, -v101
	v_add_f32_e32 v43, v38, v55
	v_fmamk_f32 v38, v103, 0xbf3f9e67, v49
	v_add_f32_e32 v107, v47, v107
	v_mul_f32_e32 v50, 0xbf3f9e67, v102
	v_add_f32_e32 v46, v36, v52
	v_add_f32_e32 v47, v37, v56
	v_mul_f32_e32 v37, 0x3f52af12, v113
	v_add_f32_e32 v48, v38, v58
	v_fma_f32 v38, 0xbf3f9e67, v103, -v49
	v_mul_f32_e32 v52, 0x3f116cb1, v102
	v_fmamk_f32 v36, v114, 0x3f29c268, v50
	v_fmac_f32_e32 v50, 0xbf29c268, v114
	v_fmamk_f32 v51, v103, 0x3f116cb1, v37
	v_add_f32_e32 v58, v38, v39
	v_fmamk_f32 v38, v114, 0xbf52af12, v52
	v_mul_f32_e32 v39, 0xbf6f5d39, v113
	v_add_f32_e32 v49, v36, v57
	v_add_f32_e32 v59, v50, v106
	;; [unrolled: 1-line block ×3, first 2 shown]
	v_fma_f32 v50, 0x3f116cb1, v103, -v37
	v_fmac_f32_e32 v52, 0x3f52af12, v114
	v_mul_f32_e32 v51, 0xbeb58ec6, v102
	v_add_f32_e32 v37, v38, v53
	v_fmamk_f32 v38, v103, 0xbeb58ec6, v39
	v_add_f32_e32 v56, v50, v109
	v_add_f32_e32 v57, v52, v105
	v_fmamk_f32 v50, v114, 0x3f6f5d39, v51
	v_fma_f32 v52, 0xbeb58ec6, v103, -v39
	v_add_f32_e32 v38, v38, v104
	v_mul_f32_e32 v53, 0x3f7e222b, v113
	v_mul_f32_e32 v104, 0x3df6dbef, v102
	v_add_f32_e32 v39, v50, v110
	v_add_f32_e32 v54, v52, v107
	v_fmac_f32_e32 v51, 0xbf6f5d39, v114
	v_fmamk_f32 v50, v103, 0x3df6dbef, v53
	v_fmamk_f32 v52, v114, 0xbf7e222b, v104
	v_fma_f32 v53, 0x3df6dbef, v103, -v53
	v_fmac_f32_e32 v104, 0x3f7e222b, v114
	v_add_f32_e32 v55, v51, v111
	v_add_f32_e32 v50, v50, v112
	;; [unrolled: 1-line block ×5, first 2 shown]
	s_barrier
	buffer_gl0_inv
	s_and_saveexec_b32 s1, vcc_lo
	s_cbranch_execz .LBB0_17
; %bb.16:
	v_mul_f32_e32 v104, 0x3f62ad3f, v78
	v_mul_f32_e32 v105, 0x3f62ad3f, v79
	;; [unrolled: 1-line block ×8, first 2 shown]
	v_add_f32_e32 v77, v77, v79
	v_sub_f32_e32 v76, v78, v76
	v_add_f32_e32 v75, v75, v105
	v_sub_f32_e32 v74, v104, v74
	v_mul_f32_e32 v79, 0x3df6dbef, v83
	v_mul_f32_e32 v108, 0x3df6dbef, v85
	v_mul_f32_e32 v83, 0xbf788fa5, v83
	v_mul_f32_e32 v85, 0xbf788fa5, v85
	v_add_f32_e32 v77, v45, v77
	v_add_f32_e32 v68, v68, v81
	v_add_f32_e32 v76, v44, v76
	v_sub_f32_e32 v67, v80, v67
	v_add_f32_e32 v45, v45, v75
	v_add_f32_e32 v61, v61, v107
	v_add_f32_e32 v44, v44, v74
	v_sub_f32_e32 v60, v106, v60
	v_mul_f32_e32 v81, 0xbeb58ec6, v89
	v_mul_f32_e32 v109, 0xbeb58ec6, v90
	v_mul_f32_e32 v89, 0xbf3f9e67, v89
	v_mul_f32_e32 v90, 0xbf3f9e67, v90
	v_add_f32_e32 v68, v68, v77
	v_add_f32_e32 v77, v84, v85
	v_add_f32_e32 v67, v67, v76
	v_sub_f32_e32 v63, v83, v63
	v_add_f32_e32 v45, v61, v45
	v_add_f32_e32 v61, v62, v108
	;; [unrolled: 12-line block ×3, first 2 shown]
	v_add_f32_e32 v44, v60, v44
	v_sub_f32_e32 v60, v81, v86
	v_mul_f32_e32 v90, 0xbf788fa5, v103
	v_mul_f32_e32 v78, 0xbf788fa5, v102
	v_mul_f32_e32 v91, 0x3f62ad3f, v103
	v_add_f32_e32 v68, v77, v68
	v_add_f32_e32 v77, v96, v97
	v_mul_f32_e32 v80, 0x3f62ad3f, v102
	v_add_f32_e32 v62, v67, v63
	v_sub_f32_e32 v63, v95, v94
	v_add_f32_e32 v45, v61, v45
	v_add_f32_e32 v61, v93, v85
	;; [unrolled: 1-line block ×3, first 2 shown]
	v_sub_f32_e32 v60, v84, v92
	v_mov_b32_e32 v74, 3
	v_add_f32_e32 v68, v77, v68
	v_add_f32_e32 v67, v101, v80
	;; [unrolled: 1-line block ×3, first 2 shown]
	v_sub_f32_e32 v63, v91, v100
	v_add_f32_e32 v61, v61, v45
	v_add_f32_e32 v75, v99, v78
	;; [unrolled: 1-line block ×3, first 2 shown]
	v_sub_f32_e32 v76, v90, v98
	v_lshlrev_b32_sdwa v73, v74, v73 dst_sel:DWORD dst_unused:UNUSED_PAD src0_sel:DWORD src1_sel:WORD_0
	v_add_f32_e32 v45, v67, v68
	v_add_f32_e32 v44, v63, v62
	;; [unrolled: 1-line block ×4, first 2 shown]
	ds_write2_b64 v73, v[40:41], v[42:43] offset1:1
	ds_write2_b64 v73, v[46:47], v[48:49] offset0:2 offset1:3
	ds_write2_b64 v73, v[36:37], v[38:39] offset0:4 offset1:5
	;; [unrolled: 1-line block ×5, first 2 shown]
	ds_write_b64 v73, v[60:61] offset:96
.LBB0_17:
	s_or_b32 exec_lo, exec_lo, s1
	s_waitcnt lgkmcnt(0)
	s_barrier
	buffer_gl0_inv
	s_and_saveexec_b32 s1, s0
	s_cbranch_execz .LBB0_19
; %bb.18:
	v_add_nc_u32_e32 v36, 0x800, v69
	v_add_nc_u32_e32 v37, 0x1000, v69
	v_add_nc_u32_e32 v44, 0x1800, v69
	v_add_nc_u32_e32 v45, 0x2000, v69
	ds_read2_b64 v[40:43], v69 offset1:130
	ds_read2_b64 v[46:49], v36 offset0:4 offset1:134
	ds_read2_b64 v[36:39], v37 offset0:8 offset1:138
	;; [unrolled: 1-line block ×4, first 2 shown]
	ds_read_b64 v[58:59], v69 offset:10400
.LBB0_19:
	s_or_b32 exec_lo, exec_lo, s1
	s_waitcnt lgkmcnt(0)
	s_barrier
	buffer_gl0_inv
	s_and_saveexec_b32 s1, s0
	s_cbranch_execz .LBB0_21
; %bb.20:
	v_mul_f32_e32 v44, v13, v43
	v_mul_f32_e32 v45, v19, v59
	;; [unrolled: 1-line block ×5, first 2 shown]
	v_fmac_f32_e32 v44, v12, v42
	v_fmac_f32_e32 v45, v18, v58
	v_mul_f32_e32 v42, v13, v42
	v_fmac_f32_e32 v60, v14, v46
	v_fmac_f32_e32 v61, v16, v56
	v_mul_f32_e32 v17, v17, v56
	v_sub_f32_e32 v13, v44, v45
	v_mul_f32_e32 v15, v15, v46
	v_fma_f32 v18, v18, v59, -v19
	v_fma_f32 v19, v12, v43, -v42
	v_sub_f32_e32 v12, v60, v61
	v_fma_f32 v16, v16, v57, -v17
	v_fma_f32 v14, v14, v47, -v15
	v_mul_f32_e32 v15, 0xbe903f40, v13
	v_add_f32_e32 v17, v18, v19
	v_mul_f32_e32 v42, 0x3f0a6770, v12
	v_mul_f32_e32 v56, v5, v49
	v_add_f32_e32 v43, v16, v14
	v_mul_f32_e32 v57, v11, v55
	v_fmamk_f32 v46, v17, 0xbf75a155, v15
	v_mul_f32_e32 v11, v11, v54
	v_mul_f32_e32 v5, v5, v48
	v_fmamk_f32 v47, v43, 0x3f575c64, v42
	v_fmac_f32_e32 v56, v4, v48
	v_add_f32_e32 v46, v41, v46
	v_fmac_f32_e32 v57, v10, v54
	v_mul_f32_e32 v48, v9, v53
	v_fma_f32 v10, v10, v55, -v11
	v_fma_f32 v11, v4, v49, -v5
	v_add_f32_e32 v46, v47, v46
	v_mul_f32_e32 v47, v7, v37
	v_mul_f32_e32 v4, v9, v52
	v_sub_f32_e32 v55, v19, v18
	v_sub_f32_e32 v54, v56, v57
	v_fmac_f32_e32 v48, v8, v52
	v_fmac_f32_e32 v47, v6, v36
	v_mul_f32_e32 v5, v7, v36
	v_fma_f32 v49, v8, v53, -v4
	v_mul_f32_e32 v53, v3, v51
	v_add_f32_e32 v58, v45, v44
	v_mul_f32_e32 v59, 0xbe903f40, v55
	v_sub_f32_e32 v62, v14, v16
	v_mul_f32_e32 v7, 0xbf4178ce, v54
	v_add_f32_e32 v9, v10, v11
	v_sub_f32_e32 v36, v47, v48
	v_fma_f32 v37, v6, v37, -v5
	v_mul_f32_e32 v52, v1, v39
	v_fmac_f32_e32 v53, v2, v50
	v_fma_f32 v63, 0xbf75a155, v58, -v59
	v_add_f32_e32 v67, v61, v60
	v_mul_f32_e32 v68, 0x3f0a6770, v62
	v_mul_f32_e32 v3, v3, v50
	v_sub_f32_e32 v50, v11, v10
	v_mul_f32_e32 v1, v1, v38
	v_fmamk_f32 v4, v9, 0xbf27a4f4, v7
	v_mul_f32_e32 v5, 0x3f68dda4, v36
	v_add_f32_e32 v8, v49, v37
	v_fmac_f32_e32 v52, v0, v38
	v_add_f32_e32 v38, v40, v63
	v_fma_f32 v63, 0x3f575c64, v67, -v68
	v_add_f32_e32 v73, v57, v56
	v_mul_f32_e32 v74, 0xbf4178ce, v50
	v_fma_f32 v51, v2, v51, -v3
	v_sub_f32_e32 v75, v37, v49
	v_fma_f32 v39, v0, v39, -v1
	v_add_f32_e32 v4, v4, v46
	v_fmamk_f32 v6, v8, 0x3ed4b147, v5
	v_sub_f32_e32 v46, v52, v53
	v_add_f32_e32 v0, v63, v38
	v_fma_f32 v1, 0xbf27a4f4, v73, -v74
	v_add_f32_e32 v38, v48, v47
	v_mul_f32_e32 v2, 0x3f68dda4, v75
	v_sub_f32_e32 v76, v39, v51
	v_add_f32_e32 v4, v6, v4
	v_mul_f32_e32 v6, 0xbf7d64f0, v46
	v_add_f32_e32 v63, v51, v39
	v_add_f32_e32 v0, v1, v0
	v_fma_f32 v1, 0xbf75a155, v17, -v15
	v_fma_f32 v3, 0x3ed4b147, v38, -v2
	v_add_f32_e32 v77, v53, v52
	v_mul_f32_e32 v15, 0xbf7d64f0, v76
	v_fmamk_f32 v78, v63, 0xbe11bafb, v6
	v_add_f32_e32 v79, v41, v1
	v_fma_f32 v42, 0x3f575c64, v43, -v42
	v_add_f32_e32 v0, v3, v0
	v_fma_f32 v3, 0xbe11bafb, v77, -v15
	v_fmac_f32_e32 v59, 0xbf75a155, v58
	v_add_f32_e32 v1, v78, v4
	v_add_f32_e32 v4, v42, v79
	v_fma_f32 v7, 0xbf27a4f4, v9, -v7
	v_add_f32_e32 v0, v3, v0
	v_add_f32_e32 v3, v40, v59
	v_fmac_f32_e32 v68, 0x3f575c64, v67
	v_fma_f32 v5, 0x3ed4b147, v8, -v5
	v_add_f32_e32 v4, v7, v4
	v_fmac_f32_e32 v74, 0xbf27a4f4, v73
	v_fmac_f32_e32 v2, 0x3ed4b147, v38
	v_add_f32_e32 v3, v68, v3
	v_fma_f32 v6, 0xbe11bafb, v63, -v6
	v_add_f32_e32 v4, v5, v4
	v_mul_f32_e32 v78, 0xbf4178ce, v55
	v_mul_f32_e32 v42, 0xbf27a4f4, v17
	v_add_f32_e32 v3, v74, v3
	v_mul_f32_e32 v79, 0x3f7d64f0, v62
	v_mul_f32_e32 v59, 0xbe11bafb, v43
	v_fmac_f32_e32 v15, 0xbe11bafb, v77
	v_fmamk_f32 v7, v13, 0x3f4178ce, v42
	v_add_f32_e32 v2, v2, v3
	v_add_f32_e32 v3, v6, v4
	v_fmamk_f32 v4, v58, 0xbf27a4f4, v78
	v_mul_f32_e32 v81, 0xbe11bafb, v17
	v_fmamk_f32 v6, v67, 0xbe11bafb, v79
	v_mul_f32_e32 v82, 0xbf0a6770, v50
	v_add_f32_e32 v5, v41, v7
	v_add_f32_e32 v4, v40, v4
	v_fmamk_f32 v7, v12, 0xbf7d64f0, v59
	v_mul_f32_e32 v68, 0x3f575c64, v9
	v_add_f32_e32 v2, v15, v2
	v_fmamk_f32 v15, v13, 0x3f7d64f0, v81
	v_mul_f32_e32 v83, 0xbf75a155, v43
	;; [unrolled: 3-line block ×9, first 2 shown]
	v_add_f32_e32 v5, v7, v5
	v_fmamk_f32 v7, v46, 0xbf68dda4, v80
	v_add_f32_e32 v15, v85, v15
	v_fmamk_f32 v85, v36, 0x3f0a6770, v88
	v_add_f32_e32 v4, v6, v4
	v_fmamk_f32 v6, v58, 0xbe11bafb, v89
	v_mul_f32_e32 v90, 0x3e903f40, v62
	v_mul_f32_e32 v91, 0x3ed4b147, v17
	v_add_f32_e32 v5, v7, v5
	v_add_f32_e32 v7, v85, v15
	;; [unrolled: 1-line block ×3, first 2 shown]
	v_fmamk_f32 v15, v67, 0xbf75a155, v90
	v_mul_f32_e32 v92, 0x3f68dda4, v50
	v_fmamk_f32 v94, v13, 0x3f68dda4, v91
	v_mul_f32_e32 v95, 0xbf27a4f4, v43
	v_mul_f32_e32 v85, 0xbf27a4f4, v63
	v_add_f32_e32 v6, v15, v6
	v_fmamk_f32 v15, v73, 0x3ed4b147, v92
	v_mul_f32_e32 v96, 0xbf0a6770, v75
	v_add_f32_e32 v94, v41, v94
	v_fmamk_f32 v97, v12, 0x3f4178ce, v95
	v_mul_f32_e32 v98, 0xbf75a155, v9
	v_fmamk_f32 v93, v46, 0x3f4178ce, v85
	v_add_f32_e32 v6, v15, v6
	v_fmamk_f32 v15, v38, 0x3f575c64, v96
	v_mul_f32_e32 v99, 0xbf4178ce, v76
	v_add_f32_e32 v94, v97, v94
	v_fmamk_f32 v97, v54, 0xbe903f40, v98
	v_mul_f32_e32 v100, 0xbe11bafb, v8
	v_mul_f32_e32 v101, 0xbf68dda4, v55
	v_add_f32_e32 v6, v15, v6
	v_fmamk_f32 v15, v77, 0xbf27a4f4, v99
	v_add_f32_e32 v94, v97, v94
	v_fmamk_f32 v97, v36, 0xbf7d64f0, v100
	;; [unrolled: 2-line block ×3, first 2 shown]
	v_mul_f32_e32 v102, 0xbf4178ce, v62
	v_add_f32_e32 v6, v15, v6
	v_add_f32_e32 v15, v97, v94
	v_mul_f32_e32 v94, 0x3f575c64, v17
	v_add_f32_e32 v17, v40, v93
	v_fmamk_f32 v93, v67, 0xbf27a4f4, v102
	v_mul_f32_e32 v97, 0x3e903f40, v50
	v_mul_f32_e32 v105, 0x3f7d64f0, v75
	;; [unrolled: 1-line block ×3, first 2 shown]
	v_fmamk_f32 v104, v13, 0x3f0a6770, v94
	v_add_f32_e32 v17, v93, v17
	v_fmamk_f32 v93, v73, 0xbf75a155, v97
	v_mul_f32_e32 v43, 0x3ed4b147, v43
	v_mul_f32_e32 v107, 0xbe11bafb, v9
	v_add_f32_e32 v19, v19, v41
	v_add_f32_e32 v104, v41, v104
	;; [unrolled: 1-line block ×3, first 2 shown]
	v_fmamk_f32 v17, v38, 0xbe11bafb, v105
	v_mul_f32_e32 v93, 0x3f0a6770, v76
	v_fmamk_f32 v106, v12, 0x3f68dda4, v43
	v_mul_f32_e32 v108, 0xbf27a4f4, v8
	v_fmamk_f32 v8, v46, 0xbf0a6770, v103
	v_add_f32_e32 v17, v17, v9
	v_fmamk_f32 v109, v77, 0x3f575c64, v93
	v_mul_f32_e32 v55, 0xbf0a6770, v55
	v_add_f32_e32 v14, v14, v19
	v_add_f32_e32 v104, v106, v104
	v_fmamk_f32 v106, v54, 0x3f7d64f0, v107
	v_add_f32_e32 v9, v8, v15
	v_add_f32_e32 v8, v109, v17
	;; [unrolled: 1-line block ×3, first 2 shown]
	v_fmamk_f32 v19, v58, 0x3f575c64, v55
	v_mul_f32_e32 v44, 0xbf68dda4, v62
	v_add_f32_e32 v11, v11, v14
	v_add_f32_e32 v104, v106, v104
	v_fmamk_f32 v106, v36, 0x3f4178ce, v108
	v_mul_f32_e32 v62, 0xbf75a155, v63
	v_add_f32_e32 v14, v60, v17
	v_add_f32_e32 v17, v40, v19
	;; [unrolled: 4-line block ×3, first 2 shown]
	v_add_f32_e32 v14, v56, v14
	v_fmamk_f32 v37, v46, 0x3e903f40, v62
	v_add_f32_e32 v17, v19, v17
	v_fmamk_f32 v19, v73, 0xbe11bafb, v50
	v_add_f32_e32 v39, v39, v11
	v_add_f32_e32 v14, v47, v14
	;; [unrolled: 1-line block ×3, first 2 shown]
	v_mul_f32_e32 v37, 0xbf4178ce, v75
	v_add_f32_e32 v15, v19, v17
	v_add_f32_e32 v17, v51, v39
	;; [unrolled: 1-line block ×3, first 2 shown]
	v_mul_f32_e32 v39, 0xbe903f40, v76
	v_fmamk_f32 v19, v38, 0xbf27a4f4, v37
	v_fmac_f32_e32 v42, 0xbf4178ce, v13
	v_add_f32_e32 v17, v49, v17
	v_add_f32_e32 v14, v53, v14
	v_fmac_f32_e32 v59, 0x3f7d64f0, v12
	v_add_f32_e32 v15, v19, v15
	v_fmamk_f32 v19, v77, 0xbf75a155, v39
	v_add_f32_e32 v17, v10, v17
	v_add_f32_e32 v42, v41, v42
	;; [unrolled: 1-line block ×3, first 2 shown]
	v_fmac_f32_e32 v68, 0xbf0a6770, v54
	v_add_f32_e32 v10, v19, v15
	v_add_f32_e32 v15, v16, v17
	v_fma_f32 v16, 0xbf27a4f4, v58, -v78
	v_add_f32_e32 v42, v59, v42
	v_add_f32_e32 v14, v57, v14
	v_fmac_f32_e32 v81, 0xbf7d64f0, v13
	v_add_f32_e32 v15, v18, v15
	v_add_f32_e32 v16, v40, v16
	v_fma_f32 v18, 0xbe11bafb, v67, -v79
	v_add_f32_e32 v17, v68, v42
	v_add_f32_e32 v14, v61, v14
	v_fma_f32 v19, 0xbe11bafb, v58, -v89
	;; [unrolled: 3-line block ×3, first 2 shown]
	v_fmac_f32_e32 v83, 0x3e903f40, v12
	v_add_f32_e32 v14, v45, v14
	v_add_f32_e32 v19, v40, v19
	v_fma_f32 v45, 0xbf75a155, v67, -v90
	v_add_f32_e32 v16, v18, v16
	v_fma_f32 v18, 0xbf75a155, v38, -v84
	v_add_f32_e32 v42, v83, v42
	v_fmac_f32_e32 v86, 0x3f68dda4, v54
	v_add_f32_e32 v19, v45, v19
	v_fma_f32 v45, 0x3ed4b147, v73, -v92
	v_add_f32_e32 v16, v18, v16
	v_fma_f32 v18, 0x3ed4b147, v77, -v87
	v_add_f32_e32 v42, v86, v42
	v_fmac_f32_e32 v88, 0xbf0a6770, v36
	v_fmac_f32_e32 v85, 0xbf4178ce, v46
	v_fma_f32 v47, 0x3ed4b147, v58, -v101
	v_add_f32_e32 v16, v18, v16
	v_add_f32_e32 v18, v45, v19
	v_fma_f32 v19, 0x3f575c64, v38, -v96
	v_add_f32_e32 v42, v88, v42
	v_fmac_f32_e32 v91, 0xbf68dda4, v13
	v_fmac_f32_e32 v94, 0xbf0a6770, v13
	;; [unrolled: 1-line block ×3, first 2 shown]
	v_add_f32_e32 v18, v19, v18
	v_add_f32_e32 v19, v85, v42
	;; [unrolled: 1-line block ×3, first 2 shown]
	v_fma_f32 v47, 0xbf27a4f4, v67, -v102
	v_add_f32_e32 v45, v41, v91
	v_add_f32_e32 v41, v41, v94
	v_fmac_f32_e32 v43, 0xbf68dda4, v12
	v_fmac_f32_e32 v98, 0x3e903f40, v54
	v_add_f32_e32 v13, v47, v42
	v_fma_f32 v42, 0xbf75a155, v73, -v97
	v_fma_f32 v47, 0x3f575c64, v58, -v55
	v_add_f32_e32 v45, v95, v45
	v_add_f32_e32 v41, v43, v41
	v_fmac_f32_e32 v107, 0xbf7d64f0, v54
	v_add_f32_e32 v12, v42, v13
	v_add_f32_e32 v13, v40, v47
	v_fma_f32 v40, 0x3ed4b147, v67, -v44
	v_fma_f32 v42, 0xbe11bafb, v38, -v105
	v_fmac_f32_e32 v74, 0xbe903f40, v36
	v_add_f32_e32 v45, v98, v45
	v_fmac_f32_e32 v100, 0x3f7d64f0, v36
	v_add_f32_e32 v13, v40, v13
	v_fma_f32 v40, 0xbe11bafb, v73, -v50
	v_add_f32_e32 v12, v42, v12
	v_mov_b32_e32 v42, 0x8f
	v_add_f32_e32 v41, v107, v41
	v_fmac_f32_e32 v108, 0xbf4178ce, v36
	v_add_f32_e32 v13, v40, v13
	v_fma_f32 v36, 0xbf27a4f4, v38, -v37
	v_mul_u32_u24_sdwa v38, v72, v42 dst_sel:DWORD dst_unused:UNUSED_PAD src0_sel:WORD_0 src1_sel:DWORD
	v_add_f32_e32 v17, v74, v17
	v_fmac_f32_e32 v80, 0x3f68dda4, v46
	v_fma_f32 v48, 0xbf27a4f4, v77, -v99
	v_add_f32_e32 v45, v100, v45
	v_fmac_f32_e32 v103, 0x3f0a6770, v46
	v_fma_f32 v37, 0x3f575c64, v77, -v93
	v_add_f32_e32 v40, v108, v41
	v_fmac_f32_e32 v62, 0xbe903f40, v46
	v_add_f32_e32 v36, v36, v13
	v_fma_f32 v39, 0xbf75a155, v77, -v39
	v_add_lshl_u32 v38, v38, v71, 3
	v_add_f32_e32 v17, v80, v17
	v_add_f32_e32 v18, v48, v18
	;; [unrolled: 1-line block ×6, first 2 shown]
	ds_write2_b64 v38, v[14:15], v[10:11] offset1:13
	ds_write2_b64 v38, v[8:9], v[6:7] offset0:26 offset1:39
	ds_write2_b64 v38, v[4:5], v[2:3] offset0:52 offset1:65
	;; [unrolled: 1-line block ×4, first 2 shown]
	ds_write_b64 v38, v[36:37] offset:1040
.LBB0_21:
	s_or_b32 exec_lo, exec_lo, s1
	s_waitcnt lgkmcnt(0)
	s_barrier
	buffer_gl0_inv
	ds_read2_b64 v[3:6], v69 offset1:143
	v_add_nc_u32_e32 v0, 0x800, v69
	v_add_nc_u32_e32 v1, 0x1000, v69
	;; [unrolled: 1-line block ×4, first 2 shown]
	ds_read2_b64 v[7:10], v0 offset0:30 offset1:173
	ds_read2_b64 v[11:14], v1 offset0:60 offset1:203
	;; [unrolled: 1-line block ×4, first 2 shown]
	s_waitcnt lgkmcnt(4)
	v_mul_f32_e32 v19, v33, v6
	v_mul_f32_e32 v33, v33, v5
	v_fmac_f32_e32 v19, v32, v5
	v_fma_f32 v6, v32, v6, -v33
	s_waitcnt lgkmcnt(3)
	v_mul_f32_e32 v5, v35, v8
	v_mul_f32_e32 v32, v35, v7
	;; [unrolled: 1-line block ×4, first 2 shown]
	s_waitcnt lgkmcnt(2)
	v_mul_f32_e32 v35, v31, v12
	v_mul_f32_e32 v41, v25, v14
	s_waitcnt lgkmcnt(1)
	v_mul_f32_e32 v42, v27, v16
	v_fmac_f32_e32 v5, v34, v7
	v_fma_f32 v7, v34, v8, -v32
	v_fma_f32 v8, v28, v10, -v29
	v_mul_f32_e32 v10, v27, v15
	v_mul_f32_e32 v25, v25, v13
	v_fmac_f32_e32 v35, v30, v11
	v_fmac_f32_e32 v41, v24, v13
	;; [unrolled: 1-line block ×3, first 2 shown]
	s_waitcnt lgkmcnt(0)
	v_mul_f32_e32 v13, v23, v36
	v_fma_f32 v10, v26, v16, -v10
	v_mul_f32_e32 v16, v23, v37
	v_mul_f32_e32 v31, v31, v11
	v_add_f32_e32 v15, v35, v42
	v_fma_f32 v13, v22, v37, -v13
	v_fmac_f32_e32 v33, v28, v9
	v_fmac_f32_e32 v16, v22, v36
	v_fma_f32 v9, v30, v12, -v31
	v_mul_f32_e32 v11, v21, v18
	v_fma_f32 v12, v24, v14, -v25
	v_mul_f32_e32 v14, v21, v17
	v_add_f32_e32 v21, v3, v5
	v_fma_f32 v23, -0.5, v15, v3
	v_sub_f32_e32 v15, v7, v13
	v_sub_f32_e32 v22, v5, v35
	;; [unrolled: 1-line block ×3, first 2 shown]
	v_add_f32_e32 v25, v5, v16
	v_fmac_f32_e32 v11, v20, v17
	v_fma_f32 v14, v20, v18, -v14
	v_add_f32_e32 v18, v21, v35
	v_fmamk_f32 v20, v15, 0xbf737871, v23
	v_sub_f32_e32 v21, v9, v10
	v_mul_f32_e32 v26, v66, v38
	v_add_f32_e32 v22, v22, v24
	v_fma_f32 v24, -0.5, v25, v3
	v_fmac_f32_e32 v23, 0x3f737871, v15
	v_add_f32_e32 v28, v4, v7
	v_fmac_f32_e32 v20, 0xbf167918, v21
	v_fma_f32 v3, v65, v39, -v26
	v_fmamk_f32 v25, v21, 0x3f737871, v24
	v_sub_f32_e32 v26, v35, v5
	v_sub_f32_e32 v27, v42, v16
	v_fmac_f32_e32 v23, 0x3f167918, v21
	v_add_f32_e32 v29, v9, v10
	v_fmac_f32_e32 v24, 0xbf737871, v21
	v_add_f32_e32 v21, v28, v9
	v_add_f32_e32 v18, v18, v42
	v_fmac_f32_e32 v25, 0xbf167918, v15
	v_add_f32_e32 v26, v26, v27
	v_fma_f32 v27, -0.5, v29, v4
	v_sub_f32_e32 v5, v5, v16
	v_fmac_f32_e32 v24, 0x3f167918, v15
	v_add_f32_e32 v15, v21, v10
	v_add_f32_e32 v21, v7, v13
	v_mul_f32_e32 v17, v66, v39
	v_add_f32_e32 v18, v18, v16
	v_fmac_f32_e32 v20, 0x3e9e377a, v22
	v_fmac_f32_e32 v23, 0x3e9e377a, v22
	;; [unrolled: 1-line block ×3, first 2 shown]
	v_fmamk_f32 v16, v5, 0x3f737871, v27
	v_sub_f32_e32 v22, v35, v42
	v_sub_f32_e32 v28, v7, v9
	;; [unrolled: 1-line block ×3, first 2 shown]
	v_fmac_f32_e32 v24, 0x3e9e377a, v26
	v_fma_f32 v26, -0.5, v21, v4
	v_fmac_f32_e32 v27, 0xbf737871, v5
	v_sub_f32_e32 v7, v9, v7
	v_sub_f32_e32 v9, v10, v13
	v_add_f32_e32 v10, v19, v33
	v_fmac_f32_e32 v17, v65, v38
	v_fmac_f32_e32 v16, 0x3f167918, v22
	v_add_f32_e32 v4, v28, v29
	v_fmamk_f32 v28, v22, 0xbf737871, v26
	v_fmac_f32_e32 v27, 0xbf167918, v22
	v_add_f32_e32 v7, v7, v9
	v_fmac_f32_e32 v26, 0x3f737871, v22
	v_add_f32_e32 v9, v10, v41
	v_add_f32_e32 v10, v41, v11
	v_fmac_f32_e32 v16, 0x3e9e377a, v4
	v_fmac_f32_e32 v28, 0x3f167918, v5
	;; [unrolled: 1-line block ×4, first 2 shown]
	v_add_f32_e32 v4, v9, v11
	v_fma_f32 v10, -0.5, v10, v19
	v_add_f32_e32 v5, v33, v17
	v_sub_f32_e32 v9, v8, v3
	v_add_f32_e32 v30, v15, v13
	v_fmac_f32_e32 v28, 0x3e9e377a, v7
	v_fmac_f32_e32 v26, 0x3e9e377a, v7
	v_add_f32_e32 v13, v4, v17
	v_sub_f32_e32 v4, v12, v14
	v_fmac_f32_e32 v19, -0.5, v5
	v_fmamk_f32 v15, v9, 0xbf737871, v10
	v_sub_f32_e32 v5, v33, v41
	v_sub_f32_e32 v7, v17, v11
	v_fmac_f32_e32 v10, 0x3f737871, v9
	v_fmamk_f32 v21, v4, 0x3f737871, v19
	v_fmac_f32_e32 v15, 0xbf167918, v4
	v_sub_f32_e32 v22, v41, v33
	v_add_f32_e32 v5, v5, v7
	v_fmac_f32_e32 v10, 0x3f167918, v4
	v_sub_f32_e32 v29, v11, v17
	v_fmac_f32_e32 v19, 0xbf737871, v4
	v_add_f32_e32 v4, v12, v14
	v_fmac_f32_e32 v15, 0x3e9e377a, v5
	v_fmac_f32_e32 v10, 0x3e9e377a, v5
	v_add_f32_e32 v5, v8, v3
	v_fmac_f32_e32 v21, 0xbf167918, v9
	v_add_f32_e32 v7, v22, v29
	v_fmac_f32_e32 v19, 0x3f167918, v9
	v_fma_f32 v4, -0.5, v4, v6
	v_sub_f32_e32 v9, v33, v17
	v_add_f32_e32 v17, v6, v8
	v_sub_f32_e32 v11, v41, v11
	v_fmac_f32_e32 v6, -0.5, v5
	v_fmac_f32_e32 v21, 0x3e9e377a, v7
	v_fmac_f32_e32 v19, 0x3e9e377a, v7
	v_fmamk_f32 v22, v9, 0x3f737871, v4
	v_sub_f32_e32 v5, v8, v12
	v_sub_f32_e32 v7, v3, v14
	v_fmamk_f32 v29, v11, 0xbf737871, v6
	v_sub_f32_e32 v8, v12, v8
	v_sub_f32_e32 v31, v14, v3
	v_fmac_f32_e32 v6, 0x3f737871, v11
	v_fmac_f32_e32 v4, 0xbf737871, v9
	;; [unrolled: 1-line block ×3, first 2 shown]
	v_add_f32_e32 v5, v5, v7
	v_fmac_f32_e32 v29, 0x3f167918, v9
	v_add_f32_e32 v7, v8, v31
	v_fmac_f32_e32 v6, 0xbf167918, v9
	v_fmac_f32_e32 v4, 0xbf167918, v11
	v_add_f32_e32 v8, v17, v12
	v_fmac_f32_e32 v22, 0x3e9e377a, v5
	v_fmac_f32_e32 v29, 0x3e9e377a, v7
	;; [unrolled: 1-line block ×4, first 2 shown]
	v_add_f32_e32 v7, v8, v14
	v_mul_f32_e32 v14, 0xbf167918, v22
	v_mul_f32_e32 v22, 0x3f4f1bbd, v22
	;; [unrolled: 1-line block ×8, first 2 shown]
	v_add_f32_e32 v32, v7, v3
	v_fmac_f32_e32 v14, 0x3f4f1bbd, v15
	v_fmac_f32_e32 v22, 0x3f167918, v15
	;; [unrolled: 1-line block ×8, first 2 shown]
	v_add_f32_e32 v3, v18, v13
	v_add_f32_e32 v5, v20, v14
	;; [unrolled: 1-line block ×10, first 2 shown]
	v_sub_f32_e32 v13, v18, v13
	v_sub_f32_e32 v15, v20, v14
	;; [unrolled: 1-line block ×10, first 2 shown]
	ds_write2_b64 v69, v[3:4], v[5:6] offset1:143
	ds_write2_b64 v0, v[7:8], v[9:10] offset0:30 offset1:173
	ds_write2_b64 v1, v[11:12], v[13:14] offset0:60 offset1:203
	;; [unrolled: 1-line block ×4, first 2 shown]
	s_waitcnt lgkmcnt(0)
	s_barrier
	buffer_gl0_inv
	s_and_b32 exec_lo, exec_lo, vcc_lo
	s_cbranch_execz .LBB0_23
; %bb.22:
	v_add_co_u32 v71, s0, s12, v69
	s_clause 0x2
	global_load_dwordx2 v[27:28], v69, s[12:13]
	global_load_dwordx2 v[29:30], v69, s[12:13] offset:880
	global_load_dwordx2 v[31:32], v69, s[12:13] offset:1760
	v_add_co_ci_u32_e64 v72, null, s13, 0, s0
	v_add_co_u32 v3, vcc_lo, 0x800, v71
	v_add_nc_u32_e32 v23, 0x2400, v69
	v_add_co_ci_u32_e32 v4, vcc_lo, 0, v72, vcc_lo
	v_add_co_u32 v5, vcc_lo, 0x1000, v71
	v_add_co_ci_u32_e32 v6, vcc_lo, 0, v72, vcc_lo
	v_add_co_u32 v7, vcc_lo, 0x1800, v71
	v_add_co_ci_u32_e32 v8, vcc_lo, 0, v72, vcc_lo
	s_clause 0x4
	global_load_dwordx2 v[33:34], v[3:4], off offset:592
	global_load_dwordx2 v[35:36], v[3:4], off offset:1472
	;; [unrolled: 1-line block ×5, first 2 shown]
	v_add_co_u32 v3, vcc_lo, 0x2000, v71
	v_add_co_ci_u32_e32 v4, vcc_lo, 0, v72, vcc_lo
	s_clause 0x3
	global_load_dwordx2 v[43:44], v[7:8], off offset:896
	global_load_dwordx2 v[45:46], v[7:8], off offset:1776
	;; [unrolled: 1-line block ×4, first 2 shown]
	v_mad_u64_u32 v[3:4], null, s10, v64, 0
	v_mad_u64_u32 v[5:6], null, s8, v70, 0
	ds_read_b64 v[51:52], v69
	ds_read2_b64 v[15:18], v2 offset0:2 offset1:112
	v_add_nc_u32_e32 v2, 0x1c00, v69
	ds_read2_b64 v[11:14], v1 offset0:38 offset1:148
	ds_read2_b64 v[23:26], v23 offset0:58 offset1:168
	s_mul_i32 s2, s9, 0x370
	v_mad_u64_u32 v[7:8], null, s11, v64, v[4:5]
	ds_read2_b64 v[19:22], v2 offset0:94 offset1:204
	s_mul_hi_u32 s3, s8, 0x370
	s_mul_i32 s4, s8, 0x370
	s_add_i32 s3, s3, s2
	s_mov_b32 s0, 0xd118b474
	s_mov_b32 s1, 0x3f46ea28
	v_mad_u64_u32 v[8:9], null, s9, v70, v[6:7]
	v_mov_b32_e32 v4, v7
	v_lshlrev_b64 v[3:4], 3, v[3:4]
	v_mov_b32_e32 v6, v8
	ds_read2_b64 v[7:10], v0 offset0:74 offset1:184
	v_lshlrev_b64 v[5:6], 3, v[5:6]
	v_add_co_u32 v3, vcc_lo, s6, v3
	v_add_co_ci_u32_e32 v4, vcc_lo, s7, v4, vcc_lo
	v_add_co_u32 v53, vcc_lo, v3, v5
	v_add_co_ci_u32_e32 v54, vcc_lo, v4, v6, vcc_lo
	ds_read2_b64 v[3:6], v69 offset0:110 offset1:220
	v_add_co_u32 v55, vcc_lo, v53, s4
	v_add_co_ci_u32_e32 v56, vcc_lo, s3, v54, vcc_lo
	v_add_co_u32 v57, vcc_lo, v55, s4
	v_add_co_ci_u32_e32 v58, vcc_lo, s3, v56, vcc_lo
	;; [unrolled: 2-line block ×9, first 2 shown]
	s_waitcnt vmcnt(11) lgkmcnt(6)
	v_mul_f32_e32 v2, v52, v28
	v_mul_f32_e32 v28, v51, v28
	s_waitcnt vmcnt(9) lgkmcnt(0)
	v_mul_f32_e32 v74, v6, v32
	v_mul_f32_e32 v32, v5, v32
	;; [unrolled: 1-line block ×4, first 2 shown]
	v_fmac_f32_e32 v2, v51, v27
	v_fma_f32 v27, v27, v52, -v28
	v_fma_f32 v6, v31, v6, -v32
	v_fmac_f32_e32 v73, v3, v29
	v_fmac_f32_e32 v74, v5, v31
	v_fma_f32 v29, v29, v4, -v30
	v_cvt_f64_f32_e32 v[4:5], v27
	v_cvt_f64_f32_e32 v[51:52], v6
	s_waitcnt vmcnt(8)
	v_mul_f32_e32 v6, v8, v34
	v_mul_f32_e32 v34, v7, v34
	v_cvt_f64_f32_e32 v[27:28], v73
	s_waitcnt vmcnt(7)
	v_mul_f32_e32 v73, v10, v36
	v_mul_f32_e32 v36, v9, v36
	;; [unrolled: 4-line block ×3, first 2 shown]
	s_waitcnt vmcnt(5)
	v_mul_f32_e32 v75, v14, v40
	v_mul_f32_e32 v40, v13, v40
	s_waitcnt vmcnt(4)
	v_mul_f32_e32 v76, v16, v42
	v_mul_f32_e32 v42, v15, v42
	;; [unrolled: 3-line block ×3, first 2 shown]
	v_fmac_f32_e32 v6, v7, v33
	v_fma_f32 v8, v33, v8, -v34
	s_waitcnt vmcnt(2)
	v_mul_f32_e32 v78, v20, v46
	v_mul_f32_e32 v46, v19, v46
	v_fmac_f32_e32 v73, v9, v35
	v_fma_f32 v33, v35, v10, -v36
	v_cvt_f64_f32_e32 v[2:3], v2
	s_waitcnt vmcnt(1)
	v_mul_f32_e32 v79, v22, v48
	v_mul_f32_e32 v48, v21, v48
	v_fmac_f32_e32 v74, v11, v37
	v_fma_f32 v34, v37, v12, -v38
	v_cvt_f64_f32_e32 v[29:30], v29
	s_waitcnt vmcnt(0)
	v_mul_f32_e32 v80, v24, v50
	v_mul_f32_e32 v50, v23, v50
	v_fmac_f32_e32 v75, v13, v39
	v_fma_f32 v35, v39, v14, -v40
	v_fmac_f32_e32 v76, v15, v41
	v_fma_f32 v36, v41, v16, -v42
	;; [unrolled: 2-line block ×3, first 2 shown]
	v_cvt_f64_f32_e32 v[6:7], v6
	v_cvt_f64_f32_e32 v[8:9], v8
	v_fmac_f32_e32 v78, v19, v45
	v_fma_f32 v41, v45, v20, -v46
	v_cvt_f64_f32_e32 v[10:11], v73
	v_cvt_f64_f32_e32 v[12:13], v33
	v_fmac_f32_e32 v79, v21, v47
	v_fma_f32 v45, v47, v22, -v48
	;; [unrolled: 4-line block ×3, first 2 shown]
	v_cvt_f64_f32_e32 v[18:19], v75
	v_cvt_f64_f32_e32 v[20:21], v35
	;; [unrolled: 1-line block ×12, first 2 shown]
	v_mul_f64 v[2:3], v[2:3], s[0:1]
	v_mul_f64 v[4:5], v[4:5], s[0:1]
	v_mul_f64 v[27:28], v[27:28], s[0:1]
	v_mul_f64 v[29:30], v[29:30], s[0:1]
	v_mul_f64 v[31:32], v[31:32], s[0:1]
	v_mul_f64 v[51:52], v[51:52], s[0:1]
	v_mul_f64 v[6:7], v[6:7], s[0:1]
	v_mul_f64 v[8:9], v[8:9], s[0:1]
	v_mul_f64 v[10:11], v[10:11], s[0:1]
	v_mul_f64 v[12:13], v[12:13], s[0:1]
	v_mul_f64 v[14:15], v[14:15], s[0:1]
	v_mul_f64 v[16:17], v[16:17], s[0:1]
	v_mul_f64 v[18:19], v[18:19], s[0:1]
	v_mul_f64 v[20:21], v[20:21], s[0:1]
	v_mul_f64 v[22:23], v[22:23], s[0:1]
	v_mul_f64 v[33:34], v[33:34], s[0:1]
	v_mul_f64 v[35:36], v[35:36], s[0:1]
	v_mul_f64 v[37:38], v[37:38], s[0:1]
	v_mul_f64 v[39:40], v[39:40], s[0:1]
	v_mul_f64 v[41:42], v[41:42], s[0:1]
	v_mul_f64 v[43:44], v[43:44], s[0:1]
	v_mul_f64 v[45:46], v[45:46], s[0:1]
	v_mul_f64 v[47:48], v[47:48], s[0:1]
	v_mul_f64 v[49:50], v[49:50], s[0:1]
	v_cvt_f32_f64_e32 v2, v[2:3]
	v_cvt_f32_f64_e32 v3, v[4:5]
	;; [unrolled: 1-line block ×24, first 2 shown]
	v_add_co_u32 v29, vcc_lo, v69, s4
	v_add_co_ci_u32_e32 v30, vcc_lo, s3, v70, vcc_lo
	v_add_co_u32 v31, vcc_lo, 0x2800, v71
	v_add_co_ci_u32_e32 v32, vcc_lo, 0, v72, vcc_lo
	;; [unrolled: 2-line block ×3, first 2 shown]
	global_store_dwordx2 v[53:54], v[2:3], off
	global_store_dwordx2 v[55:56], v[4:5], off
	;; [unrolled: 1-line block ×12, first 2 shown]
	global_load_dwordx2 v[0:1], v[31:32], off offset:320
	s_waitcnt vmcnt(0)
	v_mul_f32_e32 v2, v26, v1
	v_mul_f32_e32 v1, v25, v1
	v_fmac_f32_e32 v2, v25, v0
	v_fma_f32 v3, v0, v26, -v1
	v_cvt_f64_f32_e32 v[0:1], v2
	v_cvt_f64_f32_e32 v[2:3], v3
	v_mul_f64 v[0:1], v[0:1], s[0:1]
	v_mul_f64 v[2:3], v[2:3], s[0:1]
	v_cvt_f32_f64_e32 v0, v[0:1]
	v_cvt_f32_f64_e32 v1, v[2:3]
	v_add_co_u32 v2, vcc_lo, v33, s4
	v_add_co_ci_u32_e32 v3, vcc_lo, s3, v34, vcc_lo
	global_store_dwordx2 v[2:3], v[0:1], off
.LBB0_23:
	s_endpgm
	.section	.rodata,"a",@progbits
	.p2align	6, 0x0
	.amdhsa_kernel bluestein_single_fwd_len1430_dim1_sp_op_CI_CI
		.amdhsa_group_segment_fixed_size 11440
		.amdhsa_private_segment_fixed_size 0
		.amdhsa_kernarg_size 104
		.amdhsa_user_sgpr_count 6
		.amdhsa_user_sgpr_private_segment_buffer 1
		.amdhsa_user_sgpr_dispatch_ptr 0
		.amdhsa_user_sgpr_queue_ptr 0
		.amdhsa_user_sgpr_kernarg_segment_ptr 1
		.amdhsa_user_sgpr_dispatch_id 0
		.amdhsa_user_sgpr_flat_scratch_init 0
		.amdhsa_user_sgpr_private_segment_size 0
		.amdhsa_wavefront_size32 1
		.amdhsa_uses_dynamic_stack 0
		.amdhsa_system_sgpr_private_segment_wavefront_offset 0
		.amdhsa_system_sgpr_workgroup_id_x 1
		.amdhsa_system_sgpr_workgroup_id_y 0
		.amdhsa_system_sgpr_workgroup_id_z 0
		.amdhsa_system_sgpr_workgroup_info 0
		.amdhsa_system_vgpr_workitem_id 0
		.amdhsa_next_free_vgpr 136
		.amdhsa_next_free_sgpr 15
		.amdhsa_reserve_vcc 1
		.amdhsa_reserve_flat_scratch 0
		.amdhsa_float_round_mode_32 0
		.amdhsa_float_round_mode_16_64 0
		.amdhsa_float_denorm_mode_32 3
		.amdhsa_float_denorm_mode_16_64 3
		.amdhsa_dx10_clamp 1
		.amdhsa_ieee_mode 1
		.amdhsa_fp16_overflow 0
		.amdhsa_workgroup_processor_mode 1
		.amdhsa_memory_ordered 1
		.amdhsa_forward_progress 0
		.amdhsa_shared_vgpr_count 0
		.amdhsa_exception_fp_ieee_invalid_op 0
		.amdhsa_exception_fp_denorm_src 0
		.amdhsa_exception_fp_ieee_div_zero 0
		.amdhsa_exception_fp_ieee_overflow 0
		.amdhsa_exception_fp_ieee_underflow 0
		.amdhsa_exception_fp_ieee_inexact 0
		.amdhsa_exception_int_div_zero 0
	.end_amdhsa_kernel
	.text
.Lfunc_end0:
	.size	bluestein_single_fwd_len1430_dim1_sp_op_CI_CI, .Lfunc_end0-bluestein_single_fwd_len1430_dim1_sp_op_CI_CI
                                        ; -- End function
	.section	.AMDGPU.csdata,"",@progbits
; Kernel info:
; codeLenInByte = 16620
; NumSgprs: 17
; NumVgprs: 136
; ScratchSize: 0
; MemoryBound: 0
; FloatMode: 240
; IeeeMode: 1
; LDSByteSize: 11440 bytes/workgroup (compile time only)
; SGPRBlocks: 2
; VGPRBlocks: 16
; NumSGPRsForWavesPerEU: 17
; NumVGPRsForWavesPerEU: 136
; Occupancy: 7
; WaveLimiterHint : 1
; COMPUTE_PGM_RSRC2:SCRATCH_EN: 0
; COMPUTE_PGM_RSRC2:USER_SGPR: 6
; COMPUTE_PGM_RSRC2:TRAP_HANDLER: 0
; COMPUTE_PGM_RSRC2:TGID_X_EN: 1
; COMPUTE_PGM_RSRC2:TGID_Y_EN: 0
; COMPUTE_PGM_RSRC2:TGID_Z_EN: 0
; COMPUTE_PGM_RSRC2:TIDIG_COMP_CNT: 0
	.text
	.p2alignl 6, 3214868480
	.fill 48, 4, 3214868480
	.type	__hip_cuid_a6b88e0ce5f20e47,@object ; @__hip_cuid_a6b88e0ce5f20e47
	.section	.bss,"aw",@nobits
	.globl	__hip_cuid_a6b88e0ce5f20e47
__hip_cuid_a6b88e0ce5f20e47:
	.byte	0                               ; 0x0
	.size	__hip_cuid_a6b88e0ce5f20e47, 1

	.ident	"AMD clang version 19.0.0git (https://github.com/RadeonOpenCompute/llvm-project roc-6.4.0 25133 c7fe45cf4b819c5991fe208aaa96edf142730f1d)"
	.section	".note.GNU-stack","",@progbits
	.addrsig
	.addrsig_sym __hip_cuid_a6b88e0ce5f20e47
	.amdgpu_metadata
---
amdhsa.kernels:
  - .args:
      - .actual_access:  read_only
        .address_space:  global
        .offset:         0
        .size:           8
        .value_kind:     global_buffer
      - .actual_access:  read_only
        .address_space:  global
        .offset:         8
        .size:           8
        .value_kind:     global_buffer
      - .actual_access:  read_only
        .address_space:  global
        .offset:         16
        .size:           8
        .value_kind:     global_buffer
      - .actual_access:  read_only
        .address_space:  global
        .offset:         24
        .size:           8
        .value_kind:     global_buffer
      - .actual_access:  read_only
        .address_space:  global
        .offset:         32
        .size:           8
        .value_kind:     global_buffer
      - .offset:         40
        .size:           8
        .value_kind:     by_value
      - .address_space:  global
        .offset:         48
        .size:           8
        .value_kind:     global_buffer
      - .address_space:  global
        .offset:         56
        .size:           8
        .value_kind:     global_buffer
      - .address_space:  global
        .offset:         64
        .size:           8
        .value_kind:     global_buffer
      - .address_space:  global
        .offset:         72
        .size:           8
        .value_kind:     global_buffer
      - .offset:         80
        .size:           4
        .value_kind:     by_value
      - .address_space:  global
        .offset:         88
        .size:           8
        .value_kind:     global_buffer
      - .address_space:  global
        .offset:         96
        .size:           8
        .value_kind:     global_buffer
    .group_segment_fixed_size: 11440
    .kernarg_segment_align: 8
    .kernarg_segment_size: 104
    .language:       OpenCL C
    .language_version:
      - 2
      - 0
    .max_flat_workgroup_size: 143
    .name:           bluestein_single_fwd_len1430_dim1_sp_op_CI_CI
    .private_segment_fixed_size: 0
    .sgpr_count:     17
    .sgpr_spill_count: 0
    .symbol:         bluestein_single_fwd_len1430_dim1_sp_op_CI_CI.kd
    .uniform_work_group_size: 1
    .uses_dynamic_stack: false
    .vgpr_count:     136
    .vgpr_spill_count: 0
    .wavefront_size: 32
    .workgroup_processor_mode: 1
amdhsa.target:   amdgcn-amd-amdhsa--gfx1030
amdhsa.version:
  - 1
  - 2
...

	.end_amdgpu_metadata
